;; amdgpu-corpus repo=ROCm/rocFFT kind=compiled arch=gfx1100 opt=O3
	.text
	.amdgcn_target "amdgcn-amd-amdhsa--gfx1100"
	.amdhsa_code_object_version 6
	.protected	fft_rtc_fwd_len1632_factors_17_2_2_3_8_wgs_102_tpt_102_halfLds_sp_ip_CI_sbrr_dirReg ; -- Begin function fft_rtc_fwd_len1632_factors_17_2_2_3_8_wgs_102_tpt_102_halfLds_sp_ip_CI_sbrr_dirReg
	.globl	fft_rtc_fwd_len1632_factors_17_2_2_3_8_wgs_102_tpt_102_halfLds_sp_ip_CI_sbrr_dirReg
	.p2align	8
	.type	fft_rtc_fwd_len1632_factors_17_2_2_3_8_wgs_102_tpt_102_halfLds_sp_ip_CI_sbrr_dirReg,@function
fft_rtc_fwd_len1632_factors_17_2_2_3_8_wgs_102_tpt_102_halfLds_sp_ip_CI_sbrr_dirReg: ; @fft_rtc_fwd_len1632_factors_17_2_2_3_8_wgs_102_tpt_102_halfLds_sp_ip_CI_sbrr_dirReg
; %bb.0:
	s_clause 0x2
	s_load_b64 s[12:13], s[0:1], 0x18
	s_load_b128 s[4:7], s[0:1], 0x0
	s_load_b64 s[10:11], s[0:1], 0x50
	v_mul_u32_u24_e32 v1, 0x283, v0
	v_mov_b32_e32 v3, 0
	v_mov_b32_e32 v4, 0
	s_delay_alu instid0(VALU_DEP_3) | instskip(SKIP_1) | instid1(VALU_DEP_1)
	v_lshrrev_b32_e32 v2, 16, v1
	v_mov_b32_e32 v1, 0
	v_dual_mov_b32 v6, v1 :: v_dual_add_nc_u32 v5, s15, v2
	s_waitcnt lgkmcnt(0)
	s_load_b64 s[8:9], s[12:13], 0x0
	v_cmp_lt_u64_e64 s2, s[6:7], 2
	s_delay_alu instid0(VALU_DEP_1)
	s_and_b32 vcc_lo, exec_lo, s2
	s_cbranch_vccnz .LBB0_8
; %bb.1:
	s_load_b64 s[2:3], s[0:1], 0x10
	v_mov_b32_e32 v3, 0
	s_add_u32 s14, s12, 8
	v_mov_b32_e32 v4, 0
	s_addc_u32 s15, s13, 0
	s_mov_b64 s[18:19], 1
	s_waitcnt lgkmcnt(0)
	s_add_u32 s16, s2, 8
	s_addc_u32 s17, s3, 0
.LBB0_2:                                ; =>This Inner Loop Header: Depth=1
	s_load_b64 s[20:21], s[16:17], 0x0
                                        ; implicit-def: $vgpr7_vgpr8
	s_mov_b32 s2, exec_lo
	s_waitcnt lgkmcnt(0)
	v_or_b32_e32 v2, s21, v6
	s_delay_alu instid0(VALU_DEP_1)
	v_cmpx_ne_u64_e32 0, v[1:2]
	s_xor_b32 s3, exec_lo, s2
	s_cbranch_execz .LBB0_4
; %bb.3:                                ;   in Loop: Header=BB0_2 Depth=1
	v_cvt_f32_u32_e32 v2, s20
	v_cvt_f32_u32_e32 v7, s21
	s_sub_u32 s2, 0, s20
	s_subb_u32 s22, 0, s21
	s_delay_alu instid0(VALU_DEP_1) | instskip(NEXT) | instid1(VALU_DEP_1)
	v_fmac_f32_e32 v2, 0x4f800000, v7
	v_rcp_f32_e32 v2, v2
	s_waitcnt_depctr 0xfff
	v_mul_f32_e32 v2, 0x5f7ffffc, v2
	s_delay_alu instid0(VALU_DEP_1) | instskip(NEXT) | instid1(VALU_DEP_1)
	v_mul_f32_e32 v7, 0x2f800000, v2
	v_trunc_f32_e32 v7, v7
	s_delay_alu instid0(VALU_DEP_1) | instskip(SKIP_1) | instid1(VALU_DEP_2)
	v_fmac_f32_e32 v2, 0xcf800000, v7
	v_cvt_u32_f32_e32 v7, v7
	v_cvt_u32_f32_e32 v2, v2
	s_delay_alu instid0(VALU_DEP_2) | instskip(NEXT) | instid1(VALU_DEP_2)
	v_mul_lo_u32 v8, s2, v7
	v_mul_hi_u32 v9, s2, v2
	v_mul_lo_u32 v10, s22, v2
	s_delay_alu instid0(VALU_DEP_2) | instskip(SKIP_1) | instid1(VALU_DEP_2)
	v_add_nc_u32_e32 v8, v9, v8
	v_mul_lo_u32 v9, s2, v2
	v_add_nc_u32_e32 v8, v8, v10
	s_delay_alu instid0(VALU_DEP_2) | instskip(NEXT) | instid1(VALU_DEP_2)
	v_mul_hi_u32 v10, v2, v9
	v_mul_lo_u32 v11, v2, v8
	v_mul_hi_u32 v12, v2, v8
	v_mul_hi_u32 v13, v7, v9
	v_mul_lo_u32 v9, v7, v9
	v_mul_hi_u32 v14, v7, v8
	v_mul_lo_u32 v8, v7, v8
	v_add_co_u32 v10, vcc_lo, v10, v11
	v_add_co_ci_u32_e32 v11, vcc_lo, 0, v12, vcc_lo
	s_delay_alu instid0(VALU_DEP_2) | instskip(NEXT) | instid1(VALU_DEP_2)
	v_add_co_u32 v9, vcc_lo, v10, v9
	v_add_co_ci_u32_e32 v9, vcc_lo, v11, v13, vcc_lo
	v_add_co_ci_u32_e32 v10, vcc_lo, 0, v14, vcc_lo
	s_delay_alu instid0(VALU_DEP_2) | instskip(NEXT) | instid1(VALU_DEP_2)
	v_add_co_u32 v8, vcc_lo, v9, v8
	v_add_co_ci_u32_e32 v9, vcc_lo, 0, v10, vcc_lo
	s_delay_alu instid0(VALU_DEP_2) | instskip(NEXT) | instid1(VALU_DEP_2)
	v_add_co_u32 v2, vcc_lo, v2, v8
	v_add_co_ci_u32_e32 v7, vcc_lo, v7, v9, vcc_lo
	s_delay_alu instid0(VALU_DEP_2) | instskip(SKIP_1) | instid1(VALU_DEP_3)
	v_mul_hi_u32 v8, s2, v2
	v_mul_lo_u32 v10, s22, v2
	v_mul_lo_u32 v9, s2, v7
	s_delay_alu instid0(VALU_DEP_1) | instskip(SKIP_1) | instid1(VALU_DEP_2)
	v_add_nc_u32_e32 v8, v8, v9
	v_mul_lo_u32 v9, s2, v2
	v_add_nc_u32_e32 v8, v8, v10
	s_delay_alu instid0(VALU_DEP_2) | instskip(NEXT) | instid1(VALU_DEP_2)
	v_mul_hi_u32 v10, v2, v9
	v_mul_lo_u32 v11, v2, v8
	v_mul_hi_u32 v12, v2, v8
	v_mul_hi_u32 v13, v7, v9
	v_mul_lo_u32 v9, v7, v9
	v_mul_hi_u32 v14, v7, v8
	v_mul_lo_u32 v8, v7, v8
	v_add_co_u32 v10, vcc_lo, v10, v11
	v_add_co_ci_u32_e32 v11, vcc_lo, 0, v12, vcc_lo
	s_delay_alu instid0(VALU_DEP_2) | instskip(NEXT) | instid1(VALU_DEP_2)
	v_add_co_u32 v9, vcc_lo, v10, v9
	v_add_co_ci_u32_e32 v9, vcc_lo, v11, v13, vcc_lo
	v_add_co_ci_u32_e32 v10, vcc_lo, 0, v14, vcc_lo
	s_delay_alu instid0(VALU_DEP_2) | instskip(NEXT) | instid1(VALU_DEP_2)
	v_add_co_u32 v8, vcc_lo, v9, v8
	v_add_co_ci_u32_e32 v9, vcc_lo, 0, v10, vcc_lo
	s_delay_alu instid0(VALU_DEP_2) | instskip(NEXT) | instid1(VALU_DEP_2)
	v_add_co_u32 v2, vcc_lo, v2, v8
	v_add_co_ci_u32_e32 v13, vcc_lo, v7, v9, vcc_lo
	s_delay_alu instid0(VALU_DEP_2) | instskip(SKIP_1) | instid1(VALU_DEP_3)
	v_mul_hi_u32 v14, v5, v2
	v_mad_u64_u32 v[9:10], null, v6, v2, 0
	v_mad_u64_u32 v[7:8], null, v5, v13, 0
	;; [unrolled: 1-line block ×3, first 2 shown]
	s_delay_alu instid0(VALU_DEP_2) | instskip(NEXT) | instid1(VALU_DEP_3)
	v_add_co_u32 v2, vcc_lo, v14, v7
	v_add_co_ci_u32_e32 v7, vcc_lo, 0, v8, vcc_lo
	s_delay_alu instid0(VALU_DEP_2) | instskip(NEXT) | instid1(VALU_DEP_2)
	v_add_co_u32 v2, vcc_lo, v2, v9
	v_add_co_ci_u32_e32 v2, vcc_lo, v7, v10, vcc_lo
	v_add_co_ci_u32_e32 v7, vcc_lo, 0, v12, vcc_lo
	s_delay_alu instid0(VALU_DEP_2) | instskip(NEXT) | instid1(VALU_DEP_2)
	v_add_co_u32 v2, vcc_lo, v2, v11
	v_add_co_ci_u32_e32 v9, vcc_lo, 0, v7, vcc_lo
	s_delay_alu instid0(VALU_DEP_2) | instskip(SKIP_1) | instid1(VALU_DEP_3)
	v_mul_lo_u32 v10, s21, v2
	v_mad_u64_u32 v[7:8], null, s20, v2, 0
	v_mul_lo_u32 v11, s20, v9
	s_delay_alu instid0(VALU_DEP_2) | instskip(NEXT) | instid1(VALU_DEP_2)
	v_sub_co_u32 v7, vcc_lo, v5, v7
	v_add3_u32 v8, v8, v11, v10
	s_delay_alu instid0(VALU_DEP_1) | instskip(NEXT) | instid1(VALU_DEP_1)
	v_sub_nc_u32_e32 v10, v6, v8
	v_subrev_co_ci_u32_e64 v10, s2, s21, v10, vcc_lo
	v_add_co_u32 v11, s2, v2, 2
	s_delay_alu instid0(VALU_DEP_1) | instskip(SKIP_3) | instid1(VALU_DEP_3)
	v_add_co_ci_u32_e64 v12, s2, 0, v9, s2
	v_sub_co_u32 v13, s2, v7, s20
	v_sub_co_ci_u32_e32 v8, vcc_lo, v6, v8, vcc_lo
	v_subrev_co_ci_u32_e64 v10, s2, 0, v10, s2
	v_cmp_le_u32_e32 vcc_lo, s20, v13
	s_delay_alu instid0(VALU_DEP_3) | instskip(SKIP_1) | instid1(VALU_DEP_4)
	v_cmp_eq_u32_e64 s2, s21, v8
	v_cndmask_b32_e64 v13, 0, -1, vcc_lo
	v_cmp_le_u32_e32 vcc_lo, s21, v10
	v_cndmask_b32_e64 v14, 0, -1, vcc_lo
	v_cmp_le_u32_e32 vcc_lo, s20, v7
	;; [unrolled: 2-line block ×3, first 2 shown]
	v_cndmask_b32_e64 v15, 0, -1, vcc_lo
	v_cmp_eq_u32_e32 vcc_lo, s21, v10
	s_delay_alu instid0(VALU_DEP_2) | instskip(SKIP_3) | instid1(VALU_DEP_3)
	v_cndmask_b32_e64 v7, v15, v7, s2
	v_cndmask_b32_e32 v10, v14, v13, vcc_lo
	v_add_co_u32 v13, vcc_lo, v2, 1
	v_add_co_ci_u32_e32 v14, vcc_lo, 0, v9, vcc_lo
	v_cmp_ne_u32_e32 vcc_lo, 0, v10
	s_delay_alu instid0(VALU_DEP_2) | instskip(NEXT) | instid1(VALU_DEP_4)
	v_cndmask_b32_e32 v8, v14, v12, vcc_lo
	v_cndmask_b32_e32 v10, v13, v11, vcc_lo
	v_cmp_ne_u32_e32 vcc_lo, 0, v7
	s_delay_alu instid0(VALU_DEP_2)
	v_dual_cndmask_b32 v7, v2, v10 :: v_dual_cndmask_b32 v8, v9, v8
.LBB0_4:                                ;   in Loop: Header=BB0_2 Depth=1
	s_and_not1_saveexec_b32 s2, s3
	s_cbranch_execz .LBB0_6
; %bb.5:                                ;   in Loop: Header=BB0_2 Depth=1
	v_cvt_f32_u32_e32 v2, s20
	s_sub_i32 s3, 0, s20
	s_delay_alu instid0(VALU_DEP_1) | instskip(SKIP_2) | instid1(VALU_DEP_1)
	v_rcp_iflag_f32_e32 v2, v2
	s_waitcnt_depctr 0xfff
	v_mul_f32_e32 v2, 0x4f7ffffe, v2
	v_cvt_u32_f32_e32 v2, v2
	s_delay_alu instid0(VALU_DEP_1) | instskip(NEXT) | instid1(VALU_DEP_1)
	v_mul_lo_u32 v7, s3, v2
	v_mul_hi_u32 v7, v2, v7
	s_delay_alu instid0(VALU_DEP_1) | instskip(NEXT) | instid1(VALU_DEP_1)
	v_add_nc_u32_e32 v2, v2, v7
	v_mul_hi_u32 v2, v5, v2
	s_delay_alu instid0(VALU_DEP_1) | instskip(SKIP_1) | instid1(VALU_DEP_2)
	v_mul_lo_u32 v7, v2, s20
	v_add_nc_u32_e32 v8, 1, v2
	v_sub_nc_u32_e32 v7, v5, v7
	s_delay_alu instid0(VALU_DEP_1) | instskip(SKIP_1) | instid1(VALU_DEP_2)
	v_subrev_nc_u32_e32 v9, s20, v7
	v_cmp_le_u32_e32 vcc_lo, s20, v7
	v_dual_cndmask_b32 v7, v7, v9 :: v_dual_cndmask_b32 v2, v2, v8
	s_delay_alu instid0(VALU_DEP_1) | instskip(NEXT) | instid1(VALU_DEP_2)
	v_cmp_le_u32_e32 vcc_lo, s20, v7
	v_add_nc_u32_e32 v8, 1, v2
	s_delay_alu instid0(VALU_DEP_1)
	v_dual_cndmask_b32 v7, v2, v8 :: v_dual_mov_b32 v8, v1
.LBB0_6:                                ;   in Loop: Header=BB0_2 Depth=1
	s_or_b32 exec_lo, exec_lo, s2
	s_load_b64 s[2:3], s[14:15], 0x0
	s_delay_alu instid0(VALU_DEP_1) | instskip(NEXT) | instid1(VALU_DEP_2)
	v_mul_lo_u32 v2, v8, s20
	v_mul_lo_u32 v11, v7, s21
	v_mad_u64_u32 v[9:10], null, v7, s20, 0
	s_add_u32 s18, s18, 1
	s_addc_u32 s19, s19, 0
	s_add_u32 s14, s14, 8
	s_addc_u32 s15, s15, 0
	;; [unrolled: 2-line block ×3, first 2 shown]
	s_delay_alu instid0(VALU_DEP_1) | instskip(SKIP_1) | instid1(VALU_DEP_2)
	v_add3_u32 v2, v10, v11, v2
	v_sub_co_u32 v9, vcc_lo, v5, v9
	v_sub_co_ci_u32_e32 v2, vcc_lo, v6, v2, vcc_lo
	s_waitcnt lgkmcnt(0)
	s_delay_alu instid0(VALU_DEP_2) | instskip(NEXT) | instid1(VALU_DEP_2)
	v_mul_lo_u32 v10, s3, v9
	v_mul_lo_u32 v2, s2, v2
	v_mad_u64_u32 v[5:6], null, s2, v9, v[3:4]
	v_cmp_ge_u64_e64 s2, s[18:19], s[6:7]
	s_delay_alu instid0(VALU_DEP_1) | instskip(NEXT) | instid1(VALU_DEP_2)
	s_and_b32 vcc_lo, exec_lo, s2
	v_add3_u32 v4, v10, v6, v2
	s_delay_alu instid0(VALU_DEP_3)
	v_mov_b32_e32 v3, v5
	s_cbranch_vccnz .LBB0_9
; %bb.7:                                ;   in Loop: Header=BB0_2 Depth=1
	v_dual_mov_b32 v5, v7 :: v_dual_mov_b32 v6, v8
	s_branch .LBB0_2
.LBB0_8:
	v_dual_mov_b32 v8, v6 :: v_dual_mov_b32 v7, v5
.LBB0_9:
	s_lshl_b64 s[2:3], s[6:7], 3
	v_mul_hi_u32 v5, 0x2828283, v0
	s_add_u32 s2, s12, s2
	s_addc_u32 s3, s13, s3
	v_dual_mov_b32 v12, 0 :: v_dual_mov_b32 v11, 0
	s_load_b64 s[2:3], s[2:3], 0x0
	s_load_b64 s[0:1], s[0:1], 0x20
                                        ; implicit-def: $vgpr21
                                        ; implicit-def: $vgpr19
                                        ; implicit-def: $vgpr17
                                        ; implicit-def: $vgpr31
                                        ; implicit-def: $vgpr29
                                        ; implicit-def: $vgpr27
                                        ; implicit-def: $vgpr23
                                        ; implicit-def: $vgpr39
                                        ; implicit-def: $vgpr37
                                        ; implicit-def: $vgpr35
                                        ; implicit-def: $vgpr33
                                        ; implicit-def: $vgpr49
                                        ; implicit-def: $vgpr47
                                        ; implicit-def: $vgpr43
                                        ; implicit-def: $vgpr41
                                        ; implicit-def: $vgpr45
	s_waitcnt lgkmcnt(0)
	v_mul_lo_u32 v6, s2, v8
	v_mul_lo_u32 v9, s3, v7
	v_mad_u64_u32 v[1:2], null, s2, v7, v[3:4]
	v_mul_u32_u24_e32 v3, 0x66, v5
	v_cmp_gt_u64_e32 vcc_lo, s[0:1], v[7:8]
	s_delay_alu instid0(VALU_DEP_2) | instskip(NEXT) | instid1(VALU_DEP_4)
	v_sub_nc_u32_e32 v56, v0, v3
	v_add3_u32 v2, v9, v2, v6
	s_delay_alu instid0(VALU_DEP_2) | instskip(NEXT) | instid1(VALU_DEP_2)
	v_cmp_gt_u32_e64 s0, 0x60, v56
	v_lshlrev_b64 v[24:25], 3, v[1:2]
	s_delay_alu instid0(VALU_DEP_2) | instskip(NEXT) | instid1(SALU_CYCLE_1)
	s_and_b32 s1, vcc_lo, s0
	s_and_saveexec_b32 s2, s1
	s_cbranch_execz .LBB0_11
; %bb.10:
	v_add_nc_u32_e32 v16, 0x1e0, v56
	v_mad_u64_u32 v[0:1], null, s8, v56, 0
	v_add_nc_u32_e32 v11, 0x120, v56
	v_or_b32_e32 v15, 0x180, v56
	s_delay_alu instid0(VALU_DEP_4) | instskip(SKIP_2) | instid1(VALU_DEP_1)
	v_mad_u64_u32 v[13:14], null, s8, v16, 0
	v_add_nc_u32_e32 v9, 0x60, v56
	v_add_co_u32 v50, s1, s10, v24
	v_add_co_ci_u32_e64 v51, s1, s11, v25, s1
	s_delay_alu instid0(VALU_DEP_3) | instskip(SKIP_3) | instid1(VALU_DEP_4)
	v_mad_u64_u32 v[2:3], null, s8, v9, 0
	v_add_nc_u32_e32 v10, 0xc0, v56
	v_or_b32_e32 v28, 0x300, v56
	v_add_nc_u32_e32 v36, 0x3c0, v56
	v_mad_u64_u32 v[6:7], null, s9, v56, v[1:2]
	v_mov_b32_e32 v1, v3
	v_mad_u64_u32 v[4:5], null, s8, v10, 0
	s_delay_alu instid0(VALU_DEP_4) | instskip(NEXT) | instid1(VALU_DEP_3)
	v_mad_u64_u32 v[32:33], null, s8, v36, 0
	v_mad_u64_u32 v[7:8], null, s9, v9, v[1:2]
	;; [unrolled: 1-line block ×3, first 2 shown]
	s_delay_alu instid0(VALU_DEP_4) | instskip(SKIP_1) | instid1(VALU_DEP_2)
	v_mov_b32_e32 v3, v5
	v_mov_b32_e32 v1, v6
	v_mad_u64_u32 v[5:6], null, s9, v10, v[3:4]
	s_delay_alu instid0(VALU_DEP_4) | instskip(NEXT) | instid1(VALU_DEP_3)
	v_dual_mov_b32 v6, v9 :: v_dual_mov_b32 v3, v7
	v_lshlrev_b64 v[0:1], 3, v[0:1]
	s_delay_alu instid0(VALU_DEP_2) | instskip(NEXT) | instid1(VALU_DEP_3)
	v_mad_u64_u32 v[9:10], null, s9, v11, v[6:7]
	v_lshlrev_b64 v[2:3], 3, v[2:3]
	v_mad_u64_u32 v[6:7], null, s8, v15, 0
	s_delay_alu instid0(VALU_DEP_4) | instskip(SKIP_4) | instid1(VALU_DEP_1)
	v_add_co_u32 v0, s1, v50, v0
	v_lshlrev_b64 v[4:5], 3, v[4:5]
	v_lshlrev_b64 v[8:9], 3, v[8:9]
	v_add_co_ci_u32_e64 v1, s1, v51, v1, s1
	v_add_co_u32 v2, s1, v50, v2
	v_add_co_ci_u32_e64 v3, s1, v51, v3, s1
	s_delay_alu instid0(VALU_DEP_4) | instskip(SKIP_1) | instid1(VALU_DEP_1)
	v_mad_u64_u32 v[11:12], null, s9, v15, v[7:8]
	v_add_co_u32 v4, s1, v50, v4
	v_add_co_ci_u32_e64 v5, s1, v51, v5, s1
	v_mov_b32_e32 v10, v14
	v_add_co_u32 v8, s1, v50, v8
	s_delay_alu instid0(VALU_DEP_1) | instskip(SKIP_1) | instid1(VALU_DEP_4)
	v_add_co_ci_u32_e64 v9, s1, v51, v9, s1
	v_mov_b32_e32 v7, v11
	v_mad_u64_u32 v[14:15], null, s9, v16, v[10:11]
	s_clause 0x3
	global_load_b64 v[11:12], v[0:1], off
	global_load_b64 v[20:21], v[2:3], off
	;; [unrolled: 1-line block ×4, first 2 shown]
	v_add_nc_u32_e32 v10, 0x240, v56
	v_lshlrev_b64 v[0:1], 3, v[6:7]
	v_add_nc_u32_e32 v15, 0x2a0, v56
	s_delay_alu instid0(VALU_DEP_3) | instskip(SKIP_1) | instid1(VALU_DEP_4)
	v_mad_u64_u32 v[22:23], null, s8, v10, 0
	v_lshlrev_b64 v[3:4], 3, v[13:14]
	v_add_co_u32 v0, s1, v50, v0
	s_delay_alu instid0(VALU_DEP_1) | instskip(SKIP_2) | instid1(VALU_DEP_1)
	v_add_co_ci_u32_e64 v1, s1, v51, v1, s1
	v_mad_u64_u32 v[26:27], null, s8, v15, 0
	v_mov_b32_e32 v2, v23
	v_mad_u64_u32 v[6:7], null, s9, v10, v[2:3]
	v_add_co_u32 v2, s1, v50, v3
	s_delay_alu instid0(VALU_DEP_1) | instskip(SKIP_1) | instid1(VALU_DEP_4)
	v_add_co_ci_u32_e64 v3, s1, v51, v4, s1
	v_mov_b32_e32 v5, v27
	v_mov_b32_e32 v23, v6
	s_delay_alu instid0(VALU_DEP_2) | instskip(NEXT) | instid1(VALU_DEP_2)
	v_mad_u64_u32 v[7:8], null, s9, v15, v[5:6]
	v_lshlrev_b64 v[5:6], 3, v[22:23]
	v_add_nc_u32_e32 v22, 0x360, v56
	v_mad_u64_u32 v[8:9], null, s8, v28, 0
	s_delay_alu instid0(VALU_DEP_1) | instskip(NEXT) | instid1(VALU_DEP_1)
	v_dual_mov_b32 v27, v7 :: v_dual_mov_b32 v4, v9
	v_lshlrev_b64 v[9:10], 3, v[26:27]
	s_delay_alu instid0(VALU_DEP_2) | instskip(SKIP_4) | instid1(VALU_DEP_1)
	v_mad_u64_u32 v[13:14], null, s9, v28, v[4:5]
	v_add_co_u32 v4, s1, v50, v5
	v_mad_u64_u32 v[14:15], null, s8, v22, 0
	v_add_co_ci_u32_e64 v5, s1, v51, v6, s1
	v_add_co_u32 v6, s1, v50, v9
	v_add_co_ci_u32_e64 v7, s1, v51, v10, s1
	s_delay_alu instid0(VALU_DEP_4) | instskip(SKIP_1) | instid1(VALU_DEP_1)
	v_dual_mov_b32 v10, v15 :: v_dual_mov_b32 v9, v13
	s_waitcnt vmcnt(3)
	v_mad_u64_u32 v[34:35], null, s9, v22, v[10:11]
	v_add_nc_u32_e32 v10, 0x420, v56
	s_clause 0x3
	global_load_b64 v[30:31], v[0:1], off
	global_load_b64 v[28:29], v[2:3], off
	;; [unrolled: 1-line block ×4, first 2 shown]
	v_mov_b32_e32 v2, v33
	v_lshlrev_b64 v[0:1], 3, v[8:9]
	v_mad_u64_u32 v[3:4], null, s8, v10, 0
	v_mov_b32_e32 v15, v34
	s_delay_alu instid0(VALU_DEP_3) | instskip(NEXT) | instid1(VALU_DEP_1)
	v_add_co_u32 v0, s1, v50, v0
	v_add_co_ci_u32_e64 v1, s1, v51, v1, s1
	s_delay_alu instid0(VALU_DEP_4) | instskip(SKIP_3) | instid1(VALU_DEP_4)
	v_mad_u64_u32 v[5:6], null, s9, v36, v[2:3]
	v_mov_b32_e32 v2, v4
	v_lshlrev_b64 v[6:7], 3, v[14:15]
	v_or_b32_e32 v15, 0x480, v56
	v_mov_b32_e32 v33, v5
	s_delay_alu instid0(VALU_DEP_4) | instskip(NEXT) | instid1(VALU_DEP_3)
	v_mad_u64_u32 v[4:5], null, s9, v10, v[2:3]
	v_mad_u64_u32 v[8:9], null, s8, v15, 0
	v_add_co_u32 v5, s1, v50, v6
	s_delay_alu instid0(VALU_DEP_1)
	v_add_co_ci_u32_e64 v6, s1, v51, v7, s1
	v_add_nc_u32_e32 v7, 0x4e0, v56
	v_lshlrev_b64 v[13:14], 3, v[32:33]
	v_mov_b32_e32 v2, v9
	v_add_nc_u32_e32 v32, 0x540, v56
	v_lshlrev_b64 v[3:4], 3, v[3:4]
	v_mad_u64_u32 v[40:41], null, s8, v7, 0
	v_add_co_u32 v13, s1, v50, v13
	s_delay_alu instid0(VALU_DEP_4)
	v_mad_u64_u32 v[42:43], null, s8, v32, 0
	v_add_co_ci_u32_e64 v14, s1, v51, v14, s1
	v_mad_u64_u32 v[9:10], null, s9, v15, v[2:3]
	v_mov_b32_e32 v2, v41
	v_add_co_u32 v3, s1, v50, v3
	v_or_b32_e32 v15, 0x600, v56
	v_add_co_ci_u32_e64 v4, s1, v51, v4, s1
	s_delay_alu instid0(VALU_DEP_3) | instskip(SKIP_1) | instid1(VALU_DEP_1)
	v_mad_u64_u32 v[44:45], null, s9, v7, v[2:3]
	v_mov_b32_e32 v2, v43
	v_mad_u64_u32 v[47:48], null, s9, v32, v[2:3]
	v_add_nc_u32_e32 v10, 0x5a0, v56
	v_mad_u64_u32 v[48:49], null, s8, v15, 0
	s_clause 0x3
	global_load_b64 v[38:39], v[0:1], off
	global_load_b64 v[36:37], v[5:6], off
	global_load_b64 v[34:35], v[13:14], off
	global_load_b64 v[32:33], v[3:4], off
	v_lshlrev_b64 v[1:2], 3, v[8:9]
	v_mov_b32_e32 v41, v44
	v_mov_b32_e32 v43, v47
	v_mad_u64_u32 v[45:46], null, s8, v10, 0
	s_delay_alu instid0(VALU_DEP_1) | instskip(NEXT) | instid1(VALU_DEP_1)
	v_mov_b32_e32 v0, v46
	v_mad_u64_u32 v[3:4], null, s9, v10, v[0:1]
	v_mov_b32_e32 v0, v49
	v_add_co_u32 v1, s1, v50, v1
	v_lshlrev_b64 v[4:5], 3, v[40:41]
	v_add_co_ci_u32_e64 v2, s1, v51, v2, s1
	s_delay_alu instid0(VALU_DEP_3) | instskip(SKIP_3) | instid1(VALU_DEP_1)
	v_mad_u64_u32 v[6:7], null, s9, v15, v[0:1]
	v_lshlrev_b64 v[7:8], 3, v[42:43]
	v_mov_b32_e32 v46, v3
	v_add_co_u32 v3, s1, v50, v4
	v_add_co_ci_u32_e64 v4, s1, v51, v5, s1
	v_mov_b32_e32 v49, v6
	s_delay_alu instid0(VALU_DEP_4) | instskip(SKIP_1) | instid1(VALU_DEP_1)
	v_lshlrev_b64 v[9:10], 3, v[45:46]
	v_add_co_u32 v5, s1, v50, v7
	v_add_co_ci_u32_e64 v6, s1, v51, v8, s1
	s_delay_alu instid0(VALU_DEP_4) | instskip(NEXT) | instid1(VALU_DEP_4)
	v_lshlrev_b64 v[7:8], 3, v[48:49]
	v_add_co_u32 v9, s1, v50, v9
	s_delay_alu instid0(VALU_DEP_1) | instskip(NEXT) | instid1(VALU_DEP_3)
	v_add_co_ci_u32_e64 v10, s1, v51, v10, s1
	v_add_co_u32 v7, s1, v50, v7
	s_delay_alu instid0(VALU_DEP_1)
	v_add_co_ci_u32_e64 v8, s1, v51, v8, s1
	s_clause 0x4
	global_load_b64 v[48:49], v[1:2], off
	global_load_b64 v[46:47], v[3:4], off
	global_load_b64 v[42:43], v[5:6], off
	global_load_b64 v[44:45], v[9:10], off
	global_load_b64 v[40:41], v[7:8], off
.LBB0_11:
	s_or_b32 exec_lo, exec_lo, s2
	s_waitcnt vmcnt(0)
	v_dual_add_f32 v3, v20, v40 :: v_dual_sub_f32 v60, v19, v45
	v_sub_f32_e32 v61, v21, v41
	v_dual_add_f32 v1, v18, v44 :: v_dual_add_f32 v0, v16, v42
	s_delay_alu instid0(VALU_DEP_3) | instskip(SKIP_1) | instid1(VALU_DEP_3)
	v_mul_f32_e32 v8, 0x3f6eb680, v3
	v_dual_sub_f32 v55, v17, v43 :: v_dual_add_f32 v2, v30, v46
	v_mul_f32_e32 v9, 0x3f3d2fb0, v1
	s_delay_alu instid0(VALU_DEP_4) | instskip(NEXT) | instid1(VALU_DEP_4)
	v_mul_f32_e32 v10, 0x3ee437d1, v0
	v_dual_fmamk_f32 v4, v61, 0xbeb8f4ab, v8 :: v_dual_sub_f32 v57, v31, v47
	s_delay_alu instid0(VALU_DEP_4) | instskip(NEXT) | instid1(VALU_DEP_4)
	v_mul_f32_e32 v13, 0x3dbcf732, v2
	v_dual_fmamk_f32 v5, v60, 0xbf2c7751, v9 :: v_dual_sub_f32 v54, v27, v33
	s_delay_alu instid0(VALU_DEP_3) | instskip(SKIP_2) | instid1(VALU_DEP_3)
	v_add_f32_e32 v6, v11, v4
	v_dual_add_f32 v4, v28, v48 :: v_dual_fmamk_f32 v7, v55, 0xbf65296c, v10
	v_sub_f32_e32 v59, v29, v49
	v_dual_fmamk_f32 v15, v57, 0xbf7ee86f, v13 :: v_dual_add_f32 v6, v6, v5
	v_add_f32_e32 v5, v26, v32
	s_delay_alu instid0(VALU_DEP_2) | instskip(NEXT) | instid1(VALU_DEP_2)
	v_dual_mul_f32 v14, 0xbe8c1d8e, v4 :: v_dual_add_f32 v7, v7, v6
	v_mul_f32_e32 v50, 0xbf1a4643, v5
	s_delay_alu instid0(VALU_DEP_2) | instskip(NEXT) | instid1(VALU_DEP_2)
	v_dual_add_f32 v6, v22, v34 :: v_dual_add_f32 v7, v15, v7
	v_fmamk_f32 v52, v54, 0xbf4c4adb, v50
	s_delay_alu instid0(VALU_DEP_4) | instskip(NEXT) | instid1(VALU_DEP_1)
	v_fmamk_f32 v51, v59, 0xbf763a35, v14
	v_dual_mul_f32 v15, 0xbf59a7d5, v6 :: v_dual_add_f32 v58, v51, v7
	s_delay_alu instid0(VALU_DEP_1) | instskip(NEXT) | instid1(VALU_DEP_1)
	v_dual_add_f32 v58, v52, v58 :: v_dual_sub_f32 v53, v23, v35
	v_dual_add_f32 v7, v38, v36 :: v_dual_fmamk_f32 v62, v53, 0xbf06c442, v15
	s_delay_alu instid0(VALU_DEP_1) | instskip(NEXT) | instid1(VALU_DEP_2)
	v_dual_sub_f32 v51, v39, v37 :: v_dual_mul_f32 v52, 0xbf7ba420, v7
	v_add_f32_e32 v58, v62, v58
	s_delay_alu instid0(VALU_DEP_2) | instskip(NEXT) | instid1(VALU_DEP_1)
	v_fmamk_f32 v62, v51, 0xbe3c28d5, v52
	v_add_f32_e32 v58, v62, v58
	s_and_saveexec_b32 s1, s0
	s_cbranch_execz .LBB0_13
; %bb.12:
	v_mul_f32_e32 v62, 0xbe3c28d5, v61
	v_dual_mul_f32 v70, 0xbf06c442, v55 :: v_dual_mul_f32 v73, 0xbf06c442, v53
	v_mul_f32_e32 v77, 0x3f65296c, v54
	v_mul_f32_e32 v76, 0xbf4c4adb, v59
	v_mul_f32_e32 v84, 0xbf06c442, v57
	s_delay_alu instid0(VALU_DEP_4)
	v_fmamk_f32 v75, v0, 0xbf59a7d5, v70
	v_mul_f32_e32 v66, 0x3eb8f4ab, v60
	v_fma_f32 v70, 0xbf59a7d5, v0, -v70
	v_fmamk_f32 v67, v3, 0xbf7ba420, v62
	v_fmamk_f32 v79, v4, 0xbf1a4643, v76
	v_mul_f32_e32 v85, 0xbf65296c, v57
	v_fmamk_f32 v71, v1, 0x3f6eb680, v66
	v_mul_f32_e32 v87, 0x3f763a35, v55
	v_dual_add_f32 v67, v11, v67 :: v_dual_mul_f32 v64, 0xbf2c7751, v60
	v_fma_f32 v62, 0xbf7ba420, v3, -v62
	v_mul_f32_e32 v63, 0xbeb8f4ab, v61
	v_mul_f32_e32 v89, 0x3f2c7751, v51
	s_delay_alu instid0(VALU_DEP_4) | instskip(NEXT) | instid1(VALU_DEP_4)
	v_add_f32_e32 v67, v67, v71
	v_dual_sub_f32 v9, v9, v64 :: v_dual_add_f32 v62, v11, v62
	s_delay_alu instid0(VALU_DEP_4) | instskip(NEXT) | instid1(VALU_DEP_3)
	v_sub_f32_e32 v8, v8, v63
	v_add_f32_e32 v67, v75, v67
	v_fma_f32 v66, 0x3f6eb680, v1, -v66
	v_mul_f32_e32 v65, 0xbf65296c, v55
	s_delay_alu instid0(VALU_DEP_4) | instskip(NEXT) | instid1(VALU_DEP_3)
	v_dual_mul_f32 v75, 0xbf763a35, v53 :: v_dual_add_f32 v8, v11, v8
	v_add_f32_e32 v62, v62, v66
	v_mul_f32_e32 v66, 0x3f65296c, v60
	v_fmamk_f32 v80, v5, 0x3ee437d1, v77
	v_mul_f32_e32 v74, 0x3f2c7751, v57
	v_fmamk_f32 v81, v6, 0xbe8c1d8e, v75
	v_add_f32_e32 v62, v70, v62
	v_add_f32_e32 v8, v8, v9
	v_sub_f32_e32 v9, v10, v65
	v_fmamk_f32 v78, v2, 0x3f3d2fb0, v74
	v_mul_f32_e32 v68, 0xbf7ee86f, v57
	s_delay_alu instid0(VALU_DEP_2) | instskip(NEXT) | instid1(VALU_DEP_2)
	v_dual_add_f32 v8, v9, v8 :: v_dual_add_f32 v67, v78, v67
	v_dual_mul_f32 v72, 0xbf4c4adb, v54 :: v_dual_sub_f32 v9, v13, v68
	s_delay_alu instid0(VALU_DEP_2) | instskip(NEXT) | instid1(VALU_DEP_1)
	v_add_f32_e32 v67, v79, v67
	v_add_f32_e32 v67, v80, v67
	v_fma_f32 v70, 0x3f3d2fb0, v2, -v74
	v_mul_f32_e32 v69, 0xbf763a35, v59
	v_mul_f32_e32 v80, 0xbf7ee86f, v55
	s_delay_alu instid0(VALU_DEP_4) | instskip(NEXT) | instid1(VALU_DEP_4)
	v_add_f32_e32 v67, v81, v67
	v_dual_mul_f32 v81, 0x3f7ee86f, v51 :: v_dual_add_f32 v62, v70, v62
	v_fma_f32 v70, 0xbf1a4643, v4, -v76
	v_mul_f32_e32 v71, 0xbe3c28d5, v51
	v_fmamk_f32 v76, v0, 0x3dbcf732, v80
	s_delay_alu instid0(VALU_DEP_4) | instskip(SKIP_3) | instid1(VALU_DEP_4)
	v_fmamk_f32 v82, v7, 0x3dbcf732, v81
	v_mul_f32_e32 v78, 0xbf06c442, v61
	v_add_f32_e32 v62, v70, v62
	v_fma_f32 v70, 0x3ee437d1, v5, -v77
	v_add_f32_e32 v67, v82, v67
	s_delay_alu instid0(VALU_DEP_4) | instskip(SKIP_1) | instid1(VALU_DEP_4)
	v_fmamk_f32 v79, v3, 0xbf59a7d5, v78
	v_fma_f32 v78, 0xbf59a7d5, v3, -v78
	v_add_f32_e32 v62, v70, v62
	v_mul_f32_e32 v82, 0xbf4c4adb, v61
	s_delay_alu instid0(VALU_DEP_4) | instskip(NEXT) | instid1(VALU_DEP_4)
	v_dual_add_f32 v74, v11, v79 :: v_dual_fmamk_f32 v79, v1, 0x3ee437d1, v66
	v_add_f32_e32 v78, v11, v78
	v_fma_f32 v66, 0x3ee437d1, v1, -v66
	v_mul_f32_e32 v77, 0xbeb8f4ab, v59
	s_delay_alu instid0(VALU_DEP_4) | instskip(NEXT) | instid1(VALU_DEP_3)
	v_dual_add_f32 v74, v74, v79 :: v_dual_mul_f32 v79, 0x3f4c4adb, v57
	v_add_f32_e32 v66, v78, v66
	v_fma_f32 v78, 0x3dbcf732, v0, -v80
	v_mul_f32_e32 v80, 0x3f763a35, v60
	s_delay_alu instid0(VALU_DEP_4) | instskip(SKIP_4) | instid1(VALU_DEP_4)
	v_add_f32_e32 v74, v76, v74
	v_fmamk_f32 v76, v2, 0xbf1a4643, v79
	v_fma_f32 v70, 0xbe8c1d8e, v6, -v75
	v_add_f32_e32 v66, v78, v66
	v_fma_f32 v78, 0xbf1a4643, v2, -v79
	v_dual_mul_f32 v79, 0xbf763a35, v51 :: v_dual_add_f32 v74, v76, v74
	v_mul_f32_e32 v76, 0xbe3c28d5, v54
	v_dual_add_f32 v62, v70, v62 :: v_dual_fmamk_f32 v75, v4, 0x3f6eb680, v77
	s_delay_alu instid0(VALU_DEP_4) | instskip(SKIP_2) | instid1(VALU_DEP_4)
	v_dual_mul_f32 v83, 0xbeb8f4ab, v55 :: v_dual_add_f32 v66, v78, v66
	v_fma_f32 v77, 0x3f6eb680, v4, -v77
	v_fmamk_f32 v78, v7, 0xbe8c1d8e, v79
	v_add_f32_e32 v70, v75, v74
	v_fmamk_f32 v74, v5, 0xbf7ba420, v76
	v_fma_f32 v79, 0xbe8c1d8e, v7, -v79
	v_dual_add_f32 v66, v77, v66 :: v_dual_fmamk_f32 v77, v2, 0xbf59a7d5, v84
	s_delay_alu instid0(VALU_DEP_3) | instskip(SKIP_1) | instid1(VALU_DEP_2)
	v_dual_add_f32 v70, v74, v70 :: v_dual_mul_f32 v75, 0x3f2c7751, v53
	v_fma_f32 v81, 0x3dbcf732, v7, -v81
	v_fmamk_f32 v74, v6, 0x3f3d2fb0, v75
	s_delay_alu instid0(VALU_DEP_2) | instskip(SKIP_2) | instid1(VALU_DEP_4)
	v_add_f32_e32 v62, v81, v62
	v_fmamk_f32 v81, v1, 0xbe8c1d8e, v80
	v_fma_f32 v80, 0xbe8c1d8e, v1, -v80
	v_add_f32_e32 v70, v74, v70
	v_fmamk_f32 v74, v3, 0xbf1a4643, v82
	v_fma_f32 v75, 0x3f3d2fb0, v6, -v75
	s_delay_alu instid0(VALU_DEP_2) | instskip(NEXT) | instid1(VALU_DEP_1)
	v_add_f32_e32 v74, v11, v74
	v_dual_add_f32 v74, v74, v81 :: v_dual_fmamk_f32 v81, v0, 0x3f6eb680, v83
	s_delay_alu instid0(VALU_DEP_1) | instskip(SKIP_3) | instid1(VALU_DEP_1)
	v_add_f32_e32 v74, v81, v74
	v_mul_f32_e32 v81, 0xbf2c7751, v54
	v_add_f32_e32 v70, v78, v70
	v_mul_f32_e32 v78, 0x3f7ee86f, v59
	v_dual_add_f32 v74, v77, v74 :: v_dual_fmamk_f32 v77, v4, 0x3dbcf732, v78
	v_fma_f32 v78, 0x3dbcf732, v4, -v78
	s_delay_alu instid0(VALU_DEP_2) | instskip(SKIP_1) | instid1(VALU_DEP_1)
	v_dual_add_f32 v74, v77, v74 :: v_dual_mul_f32 v77, 0xbe3c28d5, v53
	v_fma_f32 v76, 0xbf7ba420, v5, -v76
	v_add_f32_e32 v66, v76, v66
	v_fma_f32 v76, 0xbf1a4643, v3, -v82
	v_mul_f32_e32 v82, 0xbf763a35, v61
	s_delay_alu instid0(VALU_DEP_3) | instskip(NEXT) | instid1(VALU_DEP_3)
	v_add_f32_e32 v66, v75, v66
	v_dual_add_f32 v76, v11, v76 :: v_dual_fmamk_f32 v75, v5, 0x3f3d2fb0, v81
	s_delay_alu instid0(VALU_DEP_2) | instskip(NEXT) | instid1(VALU_DEP_2)
	v_add_f32_e32 v66, v79, v66
	v_add_f32_e32 v76, v76, v80
	v_fma_f32 v80, 0x3f6eb680, v0, -v83
	s_delay_alu instid0(VALU_DEP_4) | instskip(SKIP_2) | instid1(VALU_DEP_4)
	v_dual_add_f32 v74, v75, v74 :: v_dual_fmamk_f32 v75, v6, 0xbf7ba420, v77
	v_fma_f32 v77, 0xbf7ba420, v6, -v77
	v_mul_f32_e32 v79, 0x3f06c442, v60
	v_add_f32_e32 v76, v80, v76
	v_fma_f32 v80, 0xbf59a7d5, v2, -v84
	v_mul_f32_e32 v84, 0x3f2c7751, v55
	s_delay_alu instid0(VALU_DEP_4) | instskip(SKIP_1) | instid1(VALU_DEP_4)
	v_dual_add_f32 v74, v75, v74 :: v_dual_fmamk_f32 v83, v1, 0xbf59a7d5, v79
	v_fma_f32 v79, 0xbf59a7d5, v1, -v79
	v_add_f32_e32 v76, v80, v76
	v_mul_f32_e32 v80, 0x3f65296c, v51
	s_delay_alu instid0(VALU_DEP_2) | instskip(SKIP_1) | instid1(VALU_DEP_3)
	v_dual_fmamk_f32 v75, v3, 0xbe8c1d8e, v82 :: v_dual_add_f32 v76, v78, v76
	v_fma_f32 v78, 0x3f3d2fb0, v5, -v81
	v_fmamk_f32 v81, v7, 0x3ee437d1, v80
	s_delay_alu instid0(VALU_DEP_2) | instskip(NEXT) | instid1(VALU_DEP_2)
	v_dual_add_f32 v75, v11, v75 :: v_dual_add_f32 v76, v78, v76
	v_dual_add_f32 v74, v81, v74 :: v_dual_mul_f32 v81, 0xbe3c28d5, v59
	s_delay_alu instid0(VALU_DEP_2) | instskip(SKIP_3) | instid1(VALU_DEP_3)
	v_dual_add_f32 v75, v75, v83 :: v_dual_add_f32 v76, v77, v76
	v_fma_f32 v77, 0x3ee437d1, v7, -v80
	v_fma_f32 v80, 0xbe8c1d8e, v3, -v82
	v_mul_f32_e32 v82, 0x3f7ee86f, v54
	v_add_f32_e32 v76, v77, v76
	s_delay_alu instid0(VALU_DEP_3) | instskip(NEXT) | instid1(VALU_DEP_1)
	v_dual_add_f32 v77, v11, v80 :: v_dual_mul_f32 v80, 0xbf7ee86f, v61
	v_add_f32_e32 v77, v77, v79
	v_fma_f32 v79, 0x3f3d2fb0, v0, -v84
	s_delay_alu instid0(VALU_DEP_1) | instskip(SKIP_1) | instid1(VALU_DEP_1)
	v_add_f32_e32 v77, v79, v77
	v_fma_f32 v79, 0x3ee437d1, v2, -v85
	v_add_f32_e32 v77, v79, v77
	v_fma_f32 v79, 0xbf7ba420, v4, -v81
	s_delay_alu instid0(VALU_DEP_1) | instskip(SKIP_1) | instid1(VALU_DEP_1)
	v_add_f32_e32 v77, v79, v77
	v_fma_f32 v79, 0x3dbcf732, v5, -v82
	v_add_f32_e32 v77, v79, v77
	v_fmamk_f32 v83, v0, 0x3f3d2fb0, v84
	s_delay_alu instid0(VALU_DEP_1) | instskip(SKIP_1) | instid1(VALU_DEP_1)
	v_dual_mul_f32 v84, 0xbe3c28d5, v60 :: v_dual_add_f32 v75, v83, v75
	v_mul_f32_e32 v83, 0xbeb8f4ab, v53
	v_fma_f32 v79, 0x3f6eb680, v6, -v83
	v_fmamk_f32 v78, v2, 0x3ee437d1, v85
	v_fmamk_f32 v86, v6, 0x3f6eb680, v83
	;; [unrolled: 1-line block ×3, first 2 shown]
	v_mul_f32_e32 v83, 0xbf06c442, v54
	v_add_f32_e32 v77, v79, v77
	v_dual_add_f32 v75, v78, v75 :: v_dual_fmamk_f32 v78, v4, 0xbf7ba420, v81
	v_fmamk_f32 v81, v0, 0xbe8c1d8e, v87
	s_delay_alu instid0(VALU_DEP_4) | instskip(SKIP_1) | instid1(VALU_DEP_4)
	v_fmamk_f32 v79, v5, 0xbf59a7d5, v83
	v_fma_f32 v84, 0xbf7ba420, v1, -v84
	v_dual_add_f32 v75, v78, v75 :: v_dual_fmamk_f32 v78, v5, 0x3dbcf732, v82
	v_mul_f32_e32 v82, 0xbf65296c, v59
	s_delay_alu instid0(VALU_DEP_2) | instskip(NEXT) | instid1(VALU_DEP_1)
	v_dual_add_f32 v75, v78, v75 :: v_dual_fmamk_f32 v78, v3, 0x3dbcf732, v80
	v_dual_add_f32 v75, v86, v75 :: v_dual_add_f32 v78, v11, v78
	v_mul_f32_e32 v86, 0xbf4c4adb, v51
	s_delay_alu instid0(VALU_DEP_2) | instskip(SKIP_1) | instid1(VALU_DEP_3)
	v_add_f32_e32 v78, v78, v85
	v_mul_f32_e32 v85, 0x3eb8f4ab, v57
	v_fmamk_f32 v88, v7, 0xbf1a4643, v86
	v_fma_f32 v86, 0xbf1a4643, v7, -v86
	s_delay_alu instid0(VALU_DEP_3) | instskip(NEXT) | instid1(VALU_DEP_3)
	v_dual_add_f32 v78, v81, v78 :: v_dual_fmamk_f32 v81, v2, 0x3f6eb680, v85
	v_add_f32_e32 v75, v88, v75
	s_delay_alu instid0(VALU_DEP_2) | instskip(SKIP_2) | instid1(VALU_DEP_2)
	v_dual_add_f32 v77, v86, v77 :: v_dual_add_f32 v78, v81, v78
	v_fmamk_f32 v81, v4, 0x3ee437d1, v82
	v_fma_f32 v82, 0x3ee437d1, v4, -v82
	v_dual_add_f32 v78, v81, v78 :: v_dual_mul_f32 v81, 0x3f4c4adb, v53
	s_delay_alu instid0(VALU_DEP_1) | instskip(NEXT) | instid1(VALU_DEP_2)
	v_dual_add_f32 v78, v79, v78 :: v_dual_mul_f32 v79, 0xbf65296c, v61
	v_fmamk_f32 v88, v6, 0xbf1a4643, v81
	v_mul_f32_e32 v61, 0xbf2c7751, v61
	v_fma_f32 v81, 0xbf1a4643, v6, -v81
	s_delay_alu instid0(VALU_DEP_4) | instskip(SKIP_4) | instid1(VALU_DEP_4)
	v_fmamk_f32 v86, v3, 0x3ee437d1, v79
	v_fma_f32 v79, 0x3ee437d1, v3, -v79
	v_add_f32_e32 v78, v88, v78
	v_mul_f32_e32 v88, 0x3e3c28d5, v55
	v_mul_f32_e32 v55, 0xbf4c4adb, v55
	v_add_f32_e32 v79, v11, v79
	v_fma_f32 v80, 0x3dbcf732, v3, -v80
	s_delay_alu instid0(VALU_DEP_1) | instskip(NEXT) | instid1(VALU_DEP_1)
	v_add_f32_e32 v80, v11, v80
	v_add_f32_e32 v80, v80, v84
	v_fma_f32 v84, 0xbe8c1d8e, v0, -v87
	v_mul_f32_e32 v87, 0xbf4c4adb, v60
	v_mul_f32_e32 v60, 0xbf7ee86f, v60
	s_delay_alu instid0(VALU_DEP_3) | instskip(SKIP_1) | instid1(VALU_DEP_4)
	v_add_f32_e32 v80, v84, v80
	v_fma_f32 v84, 0x3f6eb680, v2, -v85
	v_dual_add_f32 v85, v11, v86 :: v_dual_fmamk_f32 v86, v1, 0xbf1a4643, v87
	v_fma_f32 v87, 0xbf1a4643, v1, -v87
	s_delay_alu instid0(VALU_DEP_3) | instskip(NEXT) | instid1(VALU_DEP_3)
	v_add_f32_e32 v80, v84, v80
	v_dual_add_f32 v84, v85, v86 :: v_dual_fmamk_f32 v85, v0, 0xbf7ba420, v88
	v_mul_f32_e32 v86, 0x3f763a35, v57
	s_delay_alu instid0(VALU_DEP_3) | instskip(SKIP_1) | instid1(VALU_DEP_4)
	v_dual_mul_f32 v57, 0xbe3c28d5, v57 :: v_dual_add_f32 v80, v82, v80
	v_fma_f32 v82, 0xbf59a7d5, v5, -v83
	v_add_f32_e32 v83, v85, v84
	v_mul_f32_e32 v85, 0x3f2c7751, v59
	v_mul_f32_e32 v59, 0x3f06c442, v59
	s_delay_alu instid0(VALU_DEP_4) | instskip(SKIP_1) | instid1(VALU_DEP_2)
	v_dual_add_f32 v79, v79, v87 :: v_dual_add_f32 v80, v82, v80
	v_fma_f32 v87, 0x3f3d2fb0, v7, -v89
	v_add_f32_e32 v80, v81, v80
	v_fma_f32 v81, 0xbf7ba420, v0, -v88
	s_delay_alu instid0(VALU_DEP_1) | instskip(SKIP_1) | instid1(VALU_DEP_1)
	v_add_f32_e32 v79, v81, v79
	v_fma_f32 v81, 0xbe8c1d8e, v2, -v86
	v_add_f32_e32 v79, v81, v79
	v_add_f32_e32 v81, v11, v20
	s_delay_alu instid0(VALU_DEP_1) | instskip(NEXT) | instid1(VALU_DEP_1)
	v_add_f32_e32 v81, v81, v18
	v_add_f32_e32 v81, v81, v16
	s_delay_alu instid0(VALU_DEP_1) | instskip(SKIP_2) | instid1(VALU_DEP_3)
	v_dual_add_f32 v81, v81, v30 :: v_dual_fmamk_f32 v84, v2, 0xbe8c1d8e, v86
	v_fmamk_f32 v86, v3, 0x3f3d2fb0, v61
	v_fma_f32 v3, 0x3f3d2fb0, v3, -v61
	v_dual_add_f32 v81, v81, v28 :: v_dual_add_f32 v82, v84, v83
	v_fmamk_f32 v83, v4, 0x3f3d2fb0, v85
	v_fma_f32 v85, 0x3f3d2fb0, v4, -v85
	v_add_f32_e32 v86, v11, v86
	v_dual_add_f32 v3, v11, v3 :: v_dual_fmamk_f32 v88, v1, 0x3dbcf732, v60
	v_add_f32_e32 v81, v81, v26
	s_delay_alu instid0(VALU_DEP_4) | instskip(NEXT) | instid1(VALU_DEP_3)
	v_add_f32_e32 v79, v85, v79
	v_dual_add_f32 v85, v86, v88 :: v_dual_fmamk_f32 v86, v0, 0xbf1a4643, v55
	s_delay_alu instid0(VALU_DEP_3) | instskip(SKIP_1) | instid1(VALU_DEP_3)
	v_add_f32_e32 v61, v81, v22
	v_fma_f32 v0, 0xbf1a4643, v0, -v55
	v_add_f32_e32 v85, v86, v85
	s_delay_alu instid0(VALU_DEP_3) | instskip(SKIP_1) | instid1(VALU_DEP_2)
	v_dual_fmamk_f32 v86, v2, 0xbf7ba420, v57 :: v_dual_add_f32 v11, v61, v38
	v_fma_f32 v1, 0x3dbcf732, v1, -v60
	v_dual_add_f32 v85, v86, v85 :: v_dual_fmamk_f32 v86, v4, 0xbf59a7d5, v59
	v_mul_f32_e32 v84, 0xbeb8f4ab, v54
	v_add_f32_e32 v82, v83, v82
	s_delay_alu instid0(VALU_DEP_4) | instskip(SKIP_4) | instid1(VALU_DEP_4)
	v_add_f32_e32 v1, v3, v1
	v_add_f32_e32 v3, v11, v36
	;; [unrolled: 1-line block ×3, first 2 shown]
	v_fmamk_f32 v83, v5, 0x3f6eb680, v84
	v_fma_f32 v84, 0x3f6eb680, v5, -v84
	v_dual_add_f32 v0, v0, v1 :: v_dual_add_f32 v3, v3, v34
	v_fma_f32 v1, 0xbf7ba420, v2, -v57
	s_delay_alu instid0(VALU_DEP_3) | instskip(SKIP_1) | instid1(VALU_DEP_4)
	v_dual_add_f32 v82, v83, v82 :: v_dual_add_f32 v79, v84, v79
	v_fmamk_f32 v90, v7, 0x3f3d2fb0, v89
	v_dual_add_f32 v3, v3, v32 :: v_dual_mul_f32 v54, 0x3f763a35, v54
	s_delay_alu instid0(VALU_DEP_4) | instskip(SKIP_1) | instid1(VALU_DEP_4)
	v_add_f32_e32 v0, v1, v0
	v_fma_f32 v1, 0xbf59a7d5, v4, -v59
	v_add_f32_e32 v78, v90, v78
	s_delay_alu instid0(VALU_DEP_4) | instskip(NEXT) | instid1(VALU_DEP_1)
	v_dual_mul_f32 v90, 0xbf7ee86f, v53 :: v_dual_add_f32 v3, v3, v48
	v_dual_add_f32 v0, v1, v0 :: v_dual_fmamk_f32 v83, v6, 0x3dbcf732, v90
	v_fma_f32 v84, 0x3dbcf732, v6, -v90
	s_delay_alu instid0(VALU_DEP_3) | instskip(NEXT) | instid1(VALU_DEP_3)
	v_add_f32_e32 v3, v3, v46
	v_dual_add_f32 v82, v83, v82 :: v_dual_mul_f32 v83, 0xbf06c442, v51
	s_delay_alu instid0(VALU_DEP_3) | instskip(NEXT) | instid1(VALU_DEP_2)
	v_add_f32_e32 v79, v84, v79
	v_fma_f32 v84, 0xbf59a7d5, v7, -v83
	v_fmamk_f32 v83, v7, 0xbf59a7d5, v83
	s_delay_alu instid0(VALU_DEP_2) | instskip(NEXT) | instid1(VALU_DEP_1)
	v_dual_mul_f32 v2, 0x3f65296c, v53 :: v_dual_add_f32 v79, v84, v79
	v_fmamk_f32 v4, v6, 0x3ee437d1, v2
	v_fma_f32 v2, 0x3ee437d1, v6, -v2
	v_sub_f32_e32 v6, v52, v71
	v_dual_add_f32 v8, v9, v8 :: v_dual_sub_f32 v9, v14, v69
	s_delay_alu instid0(VALU_DEP_1) | instskip(SKIP_2) | instid1(VALU_DEP_2)
	v_add_f32_e32 v8, v9, v8
	v_dual_sub_f32 v9, v50, v72 :: v_dual_fmamk_f32 v60, v5, 0xbe8c1d8e, v54
	v_fma_f32 v1, 0xbe8c1d8e, v5, -v54
	v_dual_add_f32 v5, v9, v8 :: v_dual_add_f32 v10, v60, v63
	s_delay_alu instid0(VALU_DEP_2) | instskip(SKIP_1) | instid1(VALU_DEP_2)
	v_dual_add_f32 v0, v1, v0 :: v_dual_add_f32 v1, v3, v42
	v_dual_sub_f32 v8, v15, v73 :: v_dual_mul_f32 v3, 0x3eb8f4ab, v51
	v_add_f32_e32 v0, v2, v0
	s_delay_alu instid0(VALU_DEP_3) | instskip(NEXT) | instid1(VALU_DEP_3)
	v_add_f32_e32 v1, v1, v44
	v_add_f32_e32 v5, v8, v5
	s_delay_alu instid0(VALU_DEP_4)
	v_fma_f32 v2, 0x3f6eb680, v7, -v3
	v_fmamk_f32 v3, v7, 0x3f6eb680, v3
	v_add_f32_e32 v7, v83, v82
	v_add_f32_e32 v1, v40, v1
	;; [unrolled: 1-line block ×5, first 2 shown]
	s_delay_alu instid0(VALU_DEP_3)
	v_add_f32_e32 v3, v3, v4
	v_add_f32_e32 v5, v6, v5
	v_mad_u32_u24 v6, 0x44, v56, 0
	ds_store_2addr_b32 v6, v1, v5 offset1:1
	ds_store_2addr_b32 v6, v0, v79 offset0:2 offset1:3
	ds_store_2addr_b32 v6, v2, v77 offset0:4 offset1:5
	;; [unrolled: 1-line block ×7, first 2 shown]
	ds_store_b32 v6, v58 offset:64
.LBB0_13:
	s_or_b32 exec_lo, exec_lo, s1
	v_dual_sub_f32 v70, v20, v40 :: v_dual_add_f32 v67, v21, v41
	v_dual_add_f32 v60, v19, v45 :: v_dual_sub_f32 v61, v18, v44
	s_delay_alu instid0(VALU_DEP_2) | instskip(SKIP_2) | instid1(VALU_DEP_4)
	v_dual_add_f32 v54, v17, v43 :: v_dual_mul_f32 v69, 0xbeb8f4ab, v70
	v_sub_f32_e32 v55, v16, v42
	v_dual_add_f32 v51, v31, v47 :: v_dual_sub_f32 v52, v30, v46
	v_mul_f32_e32 v68, 0xbf2c7751, v61
	s_delay_alu instid0(VALU_DEP_4) | instskip(NEXT) | instid1(VALU_DEP_4)
	v_fma_f32 v0, 0x3f6eb680, v67, -v69
	v_mul_f32_e32 v62, 0xbf65296c, v55
	s_delay_alu instid0(VALU_DEP_4) | instskip(NEXT) | instid1(VALU_DEP_4)
	v_dual_add_f32 v50, v29, v49 :: v_dual_mul_f32 v59, 0xbf7ee86f, v52
	v_fma_f32 v1, 0x3f3d2fb0, v60, -v68
	s_delay_alu instid0(VALU_DEP_4) | instskip(NEXT) | instid1(VALU_DEP_4)
	v_add_f32_e32 v0, v12, v0
	v_fma_f32 v2, 0x3ee437d1, v54, -v62
	v_lshl_add_u32 v57, v56, 2, 0
	v_sub_f32_e32 v48, v28, v48
	v_sub_f32_e32 v32, v26, v32
	v_add_f32_e32 v0, v0, v1
	v_fma_f32 v1, 0x3dbcf732, v51, -v59
	v_add_nc_u32_e32 v65, 0x800, v57
	v_dual_add_f32 v46, v27, v33 :: v_dual_mul_f32 v53, 0xbf763a35, v48
	s_delay_alu instid0(VALU_DEP_4)
	v_add_f32_e32 v0, v2, v0
	v_add_nc_u32_e32 v42, 0xe00, v57
	v_add_nc_u32_e32 v64, 0xc00, v57
	;; [unrolled: 1-line block ×3, first 2 shown]
	v_fma_f32 v2, 0xbe8c1d8e, v50, -v53
	v_add_f32_e32 v0, v1, v0
	v_add_nc_u32_e32 v18, 0x200, v57
	v_add_nc_u32_e32 v44, 0x1200, v57
	v_sub_f32_e32 v28, v22, v34
	v_sub_f32_e32 v20, v38, v36
	v_mul_f32_e32 v36, 0xbf4c4adb, v32
	v_add_nc_u32_e32 v66, 0x1400, v57
	s_waitcnt lgkmcnt(0)
	v_add_f32_e32 v30, v2, v0
	s_barrier
	buffer_gl0_inv
	ds_load_2addr_b32 v[2:3], v57 offset1:102
	ds_load_2addr_b32 v[15:16], v64 offset0:48 offset1:150
	ds_load_2addr_b32 v[0:1], v18 offset0:76 offset1:178
	;; [unrolled: 1-line block ×7, first 2 shown]
	v_add_f32_e32 v26, v23, v35
	v_mul_f32_e32 v34, 0xbf06c442, v28
	v_fma_f32 v22, 0xbf1a4643, v46, -v36
	s_waitcnt lgkmcnt(0)
	s_barrier
	buffer_gl0_inv
	v_fma_f32 v63, 0xbf59a7d5, v26, -v34
	v_add_f32_e32 v38, v22, v30
	v_add_f32_e32 v22, v39, v37
	v_mul_f32_e32 v30, 0xbe3c28d5, v20
	s_delay_alu instid0(VALU_DEP_3) | instskip(NEXT) | instid1(VALU_DEP_2)
	v_add_f32_e32 v38, v63, v38
	v_fma_f32 v63, 0xbf7ba420, v22, -v30
	s_delay_alu instid0(VALU_DEP_1)
	v_add_f32_e32 v63, v63, v38
	s_and_saveexec_b32 s1, s0
	s_cbranch_execz .LBB0_15
; %bb.14:
	v_dual_add_f32 v21, v12, v21 :: v_dual_mul_f32 v38, 0x3f6eb680, v67
	v_mul_f32_e32 v72, 0x3ee437d1, v54
	v_mul_f32_e32 v71, 0x3f3d2fb0, v60
	v_dual_mul_f32 v78, 0xbf7ee86f, v70 :: v_dual_mul_f32 v81, 0xbf7ee86f, v61
	s_delay_alu instid0(VALU_DEP_4) | instskip(SKIP_1) | instid1(VALU_DEP_4)
	v_dual_add_f32 v19, v21, v19 :: v_dual_mul_f32 v74, 0xbf1a4643, v46
	v_dual_add_f32 v38, v38, v69 :: v_dual_mul_f32 v73, 0x3dbcf732, v51
	v_add_f32_e32 v68, v71, v68
	s_delay_alu instid0(VALU_DEP_3) | instskip(SKIP_3) | instid1(VALU_DEP_4)
	v_dual_add_f32 v17, v19, v17 :: v_dual_mul_f32 v76, 0xbf7ba420, v22
	v_mul_f32_e32 v19, 0xbf2c7751, v70
	v_mul_f32_e32 v79, 0xbf763a35, v70
	;; [unrolled: 1-line block ×3, first 2 shown]
	v_dual_add_f32 v17, v17, v31 :: v_dual_mul_f32 v80, 0xbf06c442, v70
	v_mul_f32_e32 v31, 0xbf4c4adb, v70
	s_delay_alu instid0(VALU_DEP_4) | instskip(NEXT) | instid1(VALU_DEP_3)
	v_fmamk_f32 v84, v67, 0xbe8c1d8e, v79
	v_dual_add_f32 v38, v12, v38 :: v_dual_add_f32 v17, v17, v29
	v_mul_f32_e32 v77, 0xbf65296c, v70
	v_mul_f32_e32 v70, 0xbe3c28d5, v70
	s_delay_alu instid0(VALU_DEP_3) | instskip(NEXT) | instid1(VALU_DEP_4)
	v_dual_mul_f32 v29, 0xbf4c4adb, v61 :: v_dual_add_f32 v38, v38, v68
	v_dual_add_f32 v17, v17, v27 :: v_dual_mul_f32 v82, 0xbe3c28d5, v61
	v_mul_f32_e32 v83, 0x3f06c442, v61
	v_fmamk_f32 v27, v67, 0x3f3d2fb0, v19
	v_fma_f32 v19, 0x3f3d2fb0, v67, -v19
	s_delay_alu instid0(VALU_DEP_4)
	v_add_f32_e32 v17, v17, v23
	v_fmamk_f32 v69, v67, 0x3ee437d1, v77
	v_fma_f32 v77, 0x3ee437d1, v67, -v77
	v_fmamk_f32 v23, v67, 0x3dbcf732, v78
	v_fma_f32 v78, 0x3dbcf732, v67, -v78
	v_add_f32_e32 v17, v17, v39
	v_fma_f32 v79, 0xbe8c1d8e, v67, -v79
	v_fmamk_f32 v39, v67, 0xbf1a4643, v31
	v_fma_f32 v31, 0xbf1a4643, v67, -v31
	v_fmamk_f32 v85, v67, 0xbf59a7d5, v80
	v_add_f32_e32 v17, v17, v37
	v_fma_f32 v80, 0xbf59a7d5, v67, -v80
	v_dual_fmamk_f32 v37, v67, 0xbf7ba420, v70 :: v_dual_add_f32 v36, v74, v36
	v_fma_f32 v67, 0xbf7ba420, v67, -v70
	s_delay_alu instid0(VALU_DEP_4)
	v_add_f32_e32 v17, v17, v35
	v_mul_f32_e32 v75, 0xbf59a7d5, v26
	v_fmamk_f32 v70, v60, 0x3dbcf732, v81
	v_add_f32_e32 v27, v12, v27
	v_add_f32_e32 v19, v12, v19
	;; [unrolled: 1-line block ×15, first 2 shown]
	v_fma_f32 v35, 0x3dbcf732, v60, -v81
	v_fmamk_f32 v71, v60, 0xbf1a4643, v29
	v_add_f32_e32 v17, v17, v43
	v_add_f32_e32 v43, v12, v85
	v_add_f32_e32 v12, v12, v67
	v_fma_f32 v29, 0xbf1a4643, v60, -v29
	v_fmamk_f32 v81, v60, 0xbf7ba420, v82
	v_add_f32_e32 v17, v17, v45
	v_mul_f32_e32 v45, 0x3f763a35, v61
	v_fma_f32 v33, 0xbf7ba420, v60, -v82
	v_add_f32_e32 v19, v19, v35
	v_dual_add_f32 v35, v49, v71 :: v_dual_add_f32 v34, v75, v34
	v_add_f32_e32 v17, v41, v17
	v_fmamk_f32 v41, v60, 0xbf59a7d5, v83
	v_fmamk_f32 v67, v60, 0xbe8c1d8e, v45
	v_fma_f32 v45, 0xbe8c1d8e, v60, -v45
	v_add_f32_e32 v30, v76, v30
	v_add_f32_e32 v27, v27, v70
	;; [unrolled: 1-line block ×3, first 2 shown]
	v_mul_f32_e32 v47, 0x3f65296c, v61
	v_mul_f32_e32 v61, 0x3eb8f4ab, v61
	v_add_f32_e32 v31, v31, v45
	v_add_f32_e32 v39, v39, v67
	v_mul_f32_e32 v67, 0xbf4c4adb, v55
	v_fmamk_f32 v68, v60, 0x3ee437d1, v47
	v_fma_f32 v45, 0x3ee437d1, v60, -v47
	v_fmamk_f32 v47, v60, 0x3f6eb680, v61
	v_add_f32_e32 v29, v69, v29
	v_add_f32_e32 v33, v77, v33
	;; [unrolled: 1-line block ×6, first 2 shown]
	v_fma_f32 v62, 0xbf1a4643, v54, -v67
	s_delay_alu instid0(VALU_DEP_2)
	v_dual_add_f32 v21, v21, v53 :: v_dual_add_f32 v38, v47, v38
	v_fma_f32 v49, 0xbf59a7d5, v60, -v83
	v_fma_f32 v60, 0x3f6eb680, v60, -v61
	v_fmamk_f32 v61, v54, 0xbf1a4643, v67
	v_mul_f32_e32 v47, 0x3f763a35, v55
	v_add_f32_e32 v19, v62, v19
	v_mul_f32_e32 v62, 0x3f2c7751, v55
	v_add_f32_e32 v12, v12, v60
	;; [unrolled: 2-line block ×3, first 2 shown]
	v_fmamk_f32 v67, v54, 0xbe8c1d8e, v47
	v_fma_f32 v47, 0xbe8c1d8e, v54, -v47
	v_add_f32_e32 v49, v78, v49
	v_fmamk_f32 v61, v54, 0xbf7ba420, v60
	v_fma_f32 v60, 0xbf7ba420, v54, -v60
	s_delay_alu instid0(VALU_DEP_4) | instskip(SKIP_1) | instid1(VALU_DEP_4)
	v_add_f32_e32 v33, v47, v33
	v_fma_f32 v47, 0x3f3d2fb0, v54, -v62
	v_add_f32_e32 v35, v61, v35
	s_delay_alu instid0(VALU_DEP_4) | instskip(SKIP_1) | instid1(VALU_DEP_4)
	v_dual_add_f32 v29, v60, v29 :: v_dual_fmamk_f32 v60, v54, 0x3f3d2fb0, v62
	v_mul_f32_e32 v61, 0xbeb8f4ab, v55
	v_add_f32_e32 v47, v47, v49
	v_mul_f32_e32 v49, 0xbf06c442, v55
	s_delay_alu instid0(VALU_DEP_4) | instskip(NEXT) | instid1(VALU_DEP_4)
	v_dual_add_f32 v41, v60, v41 :: v_dual_mul_f32 v60, 0xbf7ee86f, v55
	v_fmamk_f32 v62, v54, 0x3f6eb680, v61
	v_fma_f32 v61, 0x3f6eb680, v54, -v61
	s_delay_alu instid0(VALU_DEP_3) | instskip(SKIP_1) | instid1(VALU_DEP_3)
	v_fmamk_f32 v55, v54, 0x3dbcf732, v60
	v_fma_f32 v60, 0x3dbcf732, v54, -v60
	v_add_f32_e32 v31, v61, v31
	v_fmamk_f32 v61, v54, 0xbf59a7d5, v49
	v_fma_f32 v49, 0xbf59a7d5, v54, -v49
	v_add_f32_e32 v43, v55, v43
	v_dual_mul_f32 v55, 0xbe3c28d5, v52 :: v_dual_add_f32 v54, v73, v59
	s_delay_alu instid0(VALU_DEP_3) | instskip(SKIP_1) | instid1(VALU_DEP_3)
	v_dual_add_f32 v45, v60, v45 :: v_dual_add_f32 v12, v49, v12
	v_mul_f32_e32 v49, 0x3f763a35, v52
	v_fmamk_f32 v59, v51, 0xbf7ba420, v55
	v_fma_f32 v55, 0xbf7ba420, v51, -v55
	v_add_f32_e32 v38, v54, v38
	v_dual_mul_f32 v54, 0x3eb8f4ab, v52 :: v_dual_add_f32 v39, v62, v39
	s_delay_alu instid0(VALU_DEP_4)
	v_add_f32_e32 v27, v59, v27
	v_fmamk_f32 v59, v51, 0xbe8c1d8e, v49
	v_add_f32_e32 v19, v55, v19
	v_fma_f32 v49, 0xbe8c1d8e, v51, -v49
	v_mul_f32_e32 v55, 0xbf65296c, v52
	v_fmamk_f32 v60, v51, 0x3f6eb680, v54
	v_fma_f32 v54, 0x3f6eb680, v51, -v54
	v_add_f32_e32 v35, v59, v35
	v_add_f32_e32 v29, v49, v29
	v_fmamk_f32 v49, v51, 0x3ee437d1, v55
	v_mul_f32_e32 v59, 0xbf06c442, v52
	v_add_f32_e32 v33, v54, v33
	v_fma_f32 v54, 0x3ee437d1, v51, -v55
	v_add_f32_e32 v21, v21, v38
	v_add_f32_e32 v41, v49, v41
	v_mul_f32_e32 v49, 0x3f4c4adb, v52
	v_fmamk_f32 v55, v51, 0xbf59a7d5, v59
	v_dual_add_f32 v47, v54, v47 :: v_dual_mul_f32 v52, 0x3f2c7751, v52
	v_fma_f32 v59, 0xbf59a7d5, v51, -v59
	s_delay_alu instid0(VALU_DEP_4) | instskip(NEXT) | instid1(VALU_DEP_4)
	v_fmamk_f32 v54, v51, 0xbf1a4643, v49
	v_add_f32_e32 v39, v55, v39
	v_fma_f32 v49, 0xbf1a4643, v51, -v49
	v_fmamk_f32 v55, v51, 0x3f3d2fb0, v52
	v_fma_f32 v51, 0x3f3d2fb0, v51, -v52
	v_dual_add_f32 v43, v54, v43 :: v_dual_mul_f32 v54, 0x3f06c442, v48
	s_delay_alu instid0(VALU_DEP_4) | instskip(NEXT) | instid1(VALU_DEP_3)
	v_dual_add_f32 v45, v49, v45 :: v_dual_mul_f32 v38, 0xbf65296c, v48
	v_add_f32_e32 v12, v51, v12
	v_mul_f32_e32 v51, 0x3f2c7751, v48
	s_delay_alu instid0(VALU_DEP_4)
	v_fmamk_f32 v49, v50, 0xbf59a7d5, v54
	v_fma_f32 v52, 0xbf59a7d5, v50, -v54
	v_fmamk_f32 v53, v50, 0x3ee437d1, v38
	v_fma_f32 v38, 0x3ee437d1, v50, -v38
	v_add_f32_e32 v31, v59, v31
	v_add_f32_e32 v27, v49, v27
	v_fmamk_f32 v49, v50, 0x3f3d2fb0, v51
	v_add_f32_e32 v19, v52, v19
	v_fma_f32 v51, 0x3f3d2fb0, v50, -v51
	v_dual_mul_f32 v52, 0xbe3c28d5, v48 :: v_dual_add_f32 v33, v38, v33
	s_delay_alu instid0(VALU_DEP_4) | instskip(SKIP_1) | instid1(VALU_DEP_4)
	v_add_f32_e32 v35, v49, v35
	v_add_f32_e32 v21, v36, v21
	;; [unrolled: 1-line block ×3, first 2 shown]
	v_mul_f32_e32 v51, 0x3f7ee86f, v48
	v_fma_f32 v38, 0xbf7ba420, v50, -v52
	v_fmamk_f32 v49, v50, 0xbf7ba420, v52
	v_dual_mul_f32 v36, 0xbf06c442, v32 :: v_dual_add_f32 v37, v61, v37
	s_delay_alu instid0(VALU_DEP_4) | instskip(SKIP_4) | instid1(VALU_DEP_4)
	v_fmamk_f32 v52, v50, 0x3dbcf732, v51
	v_fma_f32 v51, 0x3dbcf732, v50, -v51
	v_dual_add_f32 v38, v38, v47 :: v_dual_mul_f32 v47, 0xbf4c4adb, v48
	v_add_f32_e32 v41, v49, v41
	v_mul_f32_e32 v49, 0xbeb8f4ab, v48
	v_add_f32_e32 v31, v51, v31
	v_add_f32_e32 v37, v55, v37
	v_fmamk_f32 v51, v50, 0xbf1a4643, v47
	v_fma_f32 v47, 0xbf1a4643, v50, -v47
	v_fmamk_f32 v48, v50, 0x3f6eb680, v49
	v_fma_f32 v49, 0x3f6eb680, v50, -v49
	s_delay_alu instid0(VALU_DEP_4) | instskip(NEXT) | instid1(VALU_DEP_4)
	v_dual_mul_f32 v50, 0x3f7ee86f, v32 :: v_dual_add_f32 v37, v51, v37
	v_add_f32_e32 v12, v47, v12
	v_add_f32_e32 v23, v23, v81
	v_dual_add_f32 v43, v48, v43 :: v_dual_mul_f32 v48, 0x3f763a35, v32
	v_add_f32_e32 v45, v49, v45
	v_mul_f32_e32 v49, 0xbeb8f4ab, v32
	s_delay_alu instid0(VALU_DEP_4)
	v_add_f32_e32 v23, v67, v23
	v_add_f32_e32 v39, v52, v39
	v_fmamk_f32 v47, v46, 0xbe8c1d8e, v48
	v_fma_f32 v48, 0xbe8c1d8e, v46, -v48
	v_add_f32_e32 v21, v34, v21
	v_add_f32_e32 v23, v60, v23
	s_delay_alu instid0(VALU_DEP_4) | instskip(SKIP_2) | instid1(VALU_DEP_4)
	v_add_f32_e32 v27, v47, v27
	v_fmamk_f32 v47, v46, 0x3f6eb680, v49
	v_add_f32_e32 v19, v48, v19
	v_add_f32_e32 v23, v53, v23
	v_fma_f32 v48, 0x3f6eb680, v46, -v49
	v_fmamk_f32 v49, v46, 0xbf59a7d5, v36
	v_fma_f32 v36, 0xbf59a7d5, v46, -v36
	v_add_f32_e32 v35, v47, v35
	v_fmamk_f32 v47, v46, 0x3dbcf732, v50
	v_add_f32_e32 v29, v48, v29
	v_dual_add_f32 v23, v49, v23 :: v_dual_mul_f32 v48, 0xbf2c7751, v32
	v_add_f32_e32 v33, v36, v33
	v_fma_f32 v36, 0x3dbcf732, v46, -v50
	v_mul_f32_e32 v49, 0xbe3c28d5, v32
	v_add_f32_e32 v41, v47, v41
	v_fmamk_f32 v47, v46, 0x3f3d2fb0, v48
	v_fma_f32 v48, 0x3f3d2fb0, v46, -v48
	v_add_f32_e32 v36, v36, v38
	v_fmamk_f32 v38, v46, 0xbf7ba420, v49
	s_delay_alu instid0(VALU_DEP_4) | instskip(NEXT) | instid1(VALU_DEP_4)
	v_dual_mul_f32 v32, 0x3f65296c, v32 :: v_dual_add_f32 v39, v47, v39
	v_dual_add_f32 v31, v48, v31 :: v_dual_mul_f32 v48, 0x3f65296c, v28
	s_delay_alu instid0(VALU_DEP_3) | instskip(NEXT) | instid1(VALU_DEP_3)
	v_add_f32_e32 v38, v38, v43
	v_fmamk_f32 v43, v46, 0x3ee437d1, v32
	v_fma_f32 v32, 0x3ee437d1, v46, -v32
	v_fma_f32 v47, 0xbf7ba420, v46, -v49
	;; [unrolled: 1-line block ×3, first 2 shown]
	v_add_f32_e32 v21, v30, v21
	v_add_f32_e32 v37, v43, v37
	v_dual_fmamk_f32 v43, v26, 0x3ee437d1, v48 :: v_dual_add_f32 v12, v32, v12
	s_delay_alu instid0(VALU_DEP_4) | instskip(NEXT) | instid1(VALU_DEP_2)
	v_dual_mul_f32 v32, 0xbf7ee86f, v28 :: v_dual_add_f32 v19, v34, v19
	v_dual_mul_f32 v34, 0xbeb8f4ab, v28 :: v_dual_add_f32 v27, v43, v27
	v_mul_f32_e32 v43, 0x3f4c4adb, v28
	s_delay_alu instid0(VALU_DEP_3) | instskip(SKIP_2) | instid1(VALU_DEP_4)
	v_fmamk_f32 v46, v26, 0x3dbcf732, v32
	v_fma_f32 v32, 0x3dbcf732, v26, -v32
	v_add_f32_e32 v45, v47, v45
	v_fmamk_f32 v47, v26, 0xbf1a4643, v43
	s_delay_alu instid0(VALU_DEP_4) | instskip(NEXT) | instid1(VALU_DEP_4)
	v_add_f32_e32 v35, v46, v35
	v_add_f32_e32 v29, v32, v29
	v_fma_f32 v32, 0xbf1a4643, v26, -v43
	v_fmamk_f32 v43, v26, 0x3f6eb680, v34
	v_mul_f32_e32 v46, 0xbe3c28d5, v28
	v_fma_f32 v34, 0x3f6eb680, v26, -v34
	s_delay_alu instid0(VALU_DEP_4) | instskip(NEXT) | instid1(VALU_DEP_4)
	v_dual_add_f32 v23, v47, v23 :: v_dual_add_f32 v32, v32, v33
	v_add_f32_e32 v33, v43, v41
	v_mul_f32_e32 v41, 0x3f2c7751, v28
	v_fmamk_f32 v43, v26, 0xbf7ba420, v46
	v_add_f32_e32 v34, v34, v36
	v_fma_f32 v36, 0xbf7ba420, v26, -v46
	v_mul_f32_e32 v28, 0xbf763a35, v28
	s_delay_alu instid0(VALU_DEP_4) | instskip(SKIP_1) | instid1(VALU_DEP_3)
	v_dual_fmamk_f32 v46, v26, 0x3f3d2fb0, v41 :: v_dual_add_f32 v39, v43, v39
	v_mul_f32_e32 v43, 0x3eb8f4ab, v20
	v_dual_add_f32 v31, v36, v31 :: v_dual_fmamk_f32 v36, v26, 0xbe8c1d8e, v28
	v_fma_f32 v41, 0x3f3d2fb0, v26, -v41
	v_fma_f32 v26, 0xbe8c1d8e, v26, -v28
	v_add_f32_e32 v38, v46, v38
	s_delay_alu instid0(VALU_DEP_4)
	v_add_f32_e32 v28, v36, v37
	v_fmamk_f32 v36, v22, 0x3f6eb680, v43
	v_mul_f32_e32 v37, 0xbf06c442, v20
	v_add_f32_e32 v12, v26, v12
	v_fma_f32 v26, 0x3f6eb680, v22, -v43
	v_mul_f32_e32 v43, 0x3f65296c, v20
	s_delay_alu instid0(VALU_DEP_4) | instskip(NEXT) | instid1(VALU_DEP_3)
	v_dual_add_f32 v27, v36, v27 :: v_dual_fmamk_f32 v30, v22, 0xbf59a7d5, v37
	v_dual_mul_f32 v36, 0x3f2c7751, v20 :: v_dual_add_f32 v19, v26, v19
	v_fma_f32 v26, 0xbf59a7d5, v22, -v37
	s_delay_alu instid0(VALU_DEP_3) | instskip(NEXT) | instid1(VALU_DEP_3)
	v_dual_mul_f32 v37, 0xbf4c4adb, v20 :: v_dual_add_f32 v30, v30, v35
	v_fmamk_f32 v35, v22, 0x3f3d2fb0, v36
	v_fma_f32 v36, 0x3f3d2fb0, v22, -v36
	s_delay_alu instid0(VALU_DEP_4) | instskip(NEXT) | instid1(VALU_DEP_4)
	v_add_f32_e32 v26, v26, v29
	v_fmamk_f32 v29, v22, 0xbf1a4643, v37
	v_add_f32_e32 v41, v41, v45
	v_add_f32_e32 v23, v35, v23
	v_fma_f32 v35, 0xbf1a4643, v22, -v37
	v_mul_f32_e32 v37, 0xbf763a35, v20
	v_add_f32_e32 v32, v36, v32
	v_fma_f32 v36, 0x3ee437d1, v22, -v43
	v_dual_mul_f32 v20, 0x3f7ee86f, v20 :: v_dual_add_f32 v29, v29, v33
	v_dual_fmamk_f32 v33, v22, 0x3ee437d1, v43 :: v_dual_add_f32 v34, v35, v34
	v_fmamk_f32 v35, v22, 0xbe8c1d8e, v37
	s_delay_alu instid0(VALU_DEP_4)
	v_add_f32_e32 v31, v36, v31
	v_fma_f32 v36, 0xbe8c1d8e, v22, -v37
	v_fmamk_f32 v37, v22, 0x3dbcf732, v20
	v_fma_f32 v20, 0x3dbcf732, v22, -v20
	v_lshl_add_u32 v22, v56, 6, v57
	v_add_f32_e32 v33, v33, v39
	s_delay_alu instid0(VALU_DEP_4) | instskip(NEXT) | instid1(VALU_DEP_4)
	v_dual_add_f32 v35, v35, v38 :: v_dual_add_f32 v28, v37, v28
	v_add_f32_e32 v12, v20, v12
	v_add_f32_e32 v36, v36, v41
	ds_store_2addr_b32 v22, v17, v21 offset1:1
	ds_store_2addr_b32 v22, v27, v30 offset0:2 offset1:3
	ds_store_2addr_b32 v22, v23, v29 offset0:4 offset1:5
	ds_store_2addr_b32 v22, v33, v35 offset0:6 offset1:7
	ds_store_2addr_b32 v22, v28, v12 offset0:8 offset1:9
	ds_store_2addr_b32 v22, v36, v31 offset0:10 offset1:11
	ds_store_2addr_b32 v22, v34, v32 offset0:12 offset1:13
	ds_store_2addr_b32 v22, v26, v19 offset0:14 offset1:15
	ds_store_b32 v22, v63 offset:64
.LBB0_15:
	s_or_b32 exec_lo, exec_lo, s1
	v_add_nc_u32_e32 v59, 0x66, v56
	v_and_b32_e32 v12, 0xff, v56
	v_add_nc_u32_e32 v60, 0xcc, v56
	v_add_nc_u32_e32 v68, 0x132, v56
	s_waitcnt lgkmcnt(0)
	v_and_b32_e32 v67, 0xff, v59
	v_mul_lo_u16 v12, 0xf1, v12
	v_and_b32_e32 v21, 0xffff, v60
	s_barrier
	buffer_gl0_inv
	v_mul_lo_u16 v17, 0xf1, v67
	v_lshrrev_b16 v23, 12, v12
	v_mul_u32_u24_e32 v73, 0xf0f1, v21
	v_add_nc_u32_e32 v69, 0x1fe, v56
	v_add_nc_u32_e32 v62, 0x264, v56
	v_lshrrev_b16 v41, 12, v17
	v_mul_lo_u16 v19, v23, 17
	v_lshrrev_b32_e32 v78, 20, v73
	v_and_b32_e32 v29, 0xffff, v69
	v_add_nc_u32_e32 v86, 0x2ca, v56
	v_mul_lo_u16 v20, v41, 17
	v_sub_nc_u16 v19, v56, v19
	v_mul_lo_u16 v27, v78, 17
	v_mul_u32_u24_e32 v70, 0xf0f1, v29
	v_and_b32_e32 v34, 0xffff, v62
	v_sub_nc_u16 v20, v59, v20
	v_and_b32_e32 v43, 0xff, v19
	v_and_b32_e32 v19, 0xffff, v68
	v_lshrrev_b32_e32 v84, 20, v70
	v_and_b32_e32 v35, 0xffff, v86
	v_and_b32_e32 v55, 0xff, v20
	v_lshlrev_b32_e32 v20, 3, v43
	v_mul_u32_u24_e32 v72, 0xf0f1, v19
	v_mul_lo_u16 v32, v84, 17
	v_mul_u32_u24_e32 v87, 0xf0f1, v34
	v_lshlrev_b32_e32 v21, 3, v55
	global_load_b64 v[19:20], v20, s[4:5]
	v_lshrrev_b32_e32 v79, 20, v72
	v_sub_nc_u16 v32, v69, v32
	v_mul_u32_u24_e32 v88, 0xf0f1, v35
	global_load_b64 v[21:22], v21, s[4:5]
	v_add_nc_u32_e32 v61, 0x198, v56
	v_lshrrev_b32_e32 v89, 20, v87
	v_and_b32_e32 v85, 0xffff, v32
	v_lshrrev_b32_e32 v90, 20, v88
	v_lshrrev_b16 v94, 13, v12
	v_and_b32_e32 v26, 0xffff, v61
	v_mul_lo_u16 v34, v89, 17
	v_lshlrev_b32_e32 v32, 3, v85
	v_mul_lo_u16 v35, v90, 17
	v_lshrrev_b16 v17, 13, v17
	v_mul_u32_u24_e32 v71, 0xf0f1, v26
	v_sub_nc_u16 v26, v60, v27
	v_mul_lo_u16 v27, v79, 17
	v_sub_nc_u16 v34, v62, v34
	v_sub_nc_u16 v35, v86, v35
	v_lshrrev_b32_e32 v80, 20, v71
	v_and_b32_e32 v81, 0xffff, v26
	v_sub_nc_u16 v26, v68, v27
	v_and_b32_e32 v91, 0xffff, v34
	v_and_b32_e32 v92, 0xffff, v35
	v_mul_lo_u16 v27, v80, 17
	v_lshlrev_b32_e32 v28, 3, v81
	v_and_b32_e32 v82, 0xffff, v26
	v_lshlrev_b32_e32 v34, 3, v91
	v_lshlrev_b32_e32 v36, 3, v92
	v_sub_nc_u16 v30, v61, v27
	global_load_b64 v[26:27], v28, s[4:5]
	v_lshrrev_b32_e32 v96, 21, v71
	v_lshrrev_b32_e32 v95, 21, v72
	;; [unrolled: 1-line block ×3, first 2 shown]
	v_and_b32_e32 v83, 0xffff, v30
	v_lshrrev_b32_e32 v97, 21, v70
	v_lshrrev_b32_e32 v87, 21, v87
	v_cmp_gt_u32_e64 s0, 34, v56
	global_load_b64 v[32:33], v32, s[4:5]
	v_lshlrev_b32_e32 v30, 3, v83
	global_load_b64 v[30:31], v30, s[4:5]
	v_lshlrev_b32_e32 v28, 3, v82
	s_clause 0x2
	global_load_b64 v[28:29], v28, s[4:5]
	global_load_b64 v[34:35], v34, s[4:5]
	;; [unrolled: 1-line block ×3, first 2 shown]
	ds_load_2addr_b32 v[38:39], v64 offset0:48 offset1:150
	ds_load_2addr_b32 v[45:46], v42 offset0:124 offset1:226
	ds_load_2addr_b32 v[47:48], v57 offset1:102
	ds_load_2addr_b32 v[49:50], v44 offset0:72 offset1:174
	ds_load_2addr_b32 v[51:52], v18 offset0:76 offset1:178
	;; [unrolled: 1-line block ×5, first 2 shown]
	s_waitcnt vmcnt(0) lgkmcnt(0)
	s_barrier
	buffer_gl0_inv
	v_mul_f32_e32 v93, v38, v20
	v_mul_f32_e32 v20, v15, v20
	s_delay_alu instid0(VALU_DEP_2) | instskip(NEXT) | instid1(VALU_DEP_2)
	v_fma_f32 v15, v15, v19, -v93
	v_fmac_f32_e32 v20, v38, v19
	v_lshrrev_b32_e32 v93, 21, v73
	v_mul_lo_u16 v19, v94, 34
	s_delay_alu instid0(VALU_DEP_3) | instskip(NEXT) | instid1(VALU_DEP_2)
	v_dual_sub_f32 v15, v2, v15 :: v_dual_sub_f32 v20, v47, v20
	v_sub_nc_u16 v19, v56, v19
	s_delay_alu instid0(VALU_DEP_2) | instskip(SKIP_2) | instid1(VALU_DEP_2)
	v_fma_f32 v2, v2, 2.0, -v15
	v_mul_f32_e32 v38, v45, v27
	v_mul_f32_e32 v27, v13, v27
	v_fma_f32 v13, v13, v26, -v38
	s_delay_alu instid0(VALU_DEP_2) | instskip(SKIP_2) | instid1(VALU_DEP_4)
	v_fmac_f32_e32 v27, v45, v26
	v_mul_u32_u24_e32 v38, 0x88, v89
	v_mul_u32_u24_e32 v45, 0x88, v90
	v_sub_f32_e32 v13, v0, v13
	s_delay_alu instid0(VALU_DEP_1) | instskip(SKIP_2) | instid1(VALU_DEP_2)
	v_fma_f32 v0, v0, 2.0, -v13
	v_mul_f32_e32 v26, v46, v29
	v_mul_f32_e32 v29, v14, v29
	v_fma_f32 v14, v14, v28, -v26
	s_delay_alu instid0(VALU_DEP_2) | instskip(SKIP_2) | instid1(VALU_DEP_3)
	v_dual_fmac_f32 v29, v46, v28 :: v_dual_and_b32 v12, 0xffff, v23
	v_mul_f32_e32 v23, v39, v22
	v_mul_f32_e32 v22, v16, v22
	v_dual_mul_f32 v28, v10, v31 :: v_dual_sub_f32 v29, v52, v29
	s_delay_alu instid0(VALU_DEP_4) | instskip(SKIP_1) | instid1(VALU_DEP_4)
	v_mul_u32_u24_e32 v12, 0x88, v12
	v_mul_lo_u16 v26, v17, 34
	v_fmac_f32_e32 v22, v39, v21
	v_mul_u32_u24_e32 v39, 0x88, v79
	v_mul_f32_e32 v79, v49, v31
	v_fmac_f32_e32 v28, v49, v30
	v_fma_f32 v16, v16, v21, -v23
	v_dual_sub_f32 v14, v1, v14 :: v_dual_and_b32 v21, 0xffff, v41
	s_delay_alu instid0(VALU_DEP_4)
	v_fma_f32 v10, v10, v30, -v79
	v_lshlrev_b32_e32 v43, 2, v43
	v_mul_lo_u16 v30, v96, 34
	v_sub_nc_u16 v26, v59, v26
	v_mul_u32_u24_e32 v23, 0x88, v78
	v_sub_f32_e32 v10, v6, v10
	v_add3_u32 v43, 0, v12, v43
	v_mul_f32_e32 v12, v50, v33
	v_sub_nc_u16 v30, v61, v30
	v_mul_u32_u24_e32 v78, 0x88, v84
	v_mul_u32_u24_e32 v21, 0x88, v21
	v_mul_lo_u16 v31, v93, 34
	v_fma_f32 v12, v11, v32, -v12
	v_mul_f32_e32 v11, v11, v33
	v_and_b32_e32 v89, 0xffff, v30
	v_lshlrev_b32_e32 v30, 2, v81
	v_mul_u32_u24_e32 v41, 0x88, v80
	v_mul_lo_u16 v80, v95, 34
	v_dual_fmac_f32 v11, v50, v32 :: v_dual_and_b32 v84, 0xff, v26
	v_lshlrev_b32_e32 v26, 2, v55
	v_lshlrev_b32_e32 v55, 2, v83
	;; [unrolled: 1-line block ×3, first 2 shown]
	v_add3_u32 v30, 0, v23, v30
	v_mul_f32_e32 v23, v76, v35
	v_add3_u32 v21, 0, v21, v26
	v_mul_f32_e32 v26, v8, v35
	;; [unrolled: 2-line block ×3, first 2 shown]
	v_mul_lo_u16 v46, v88, 34
	v_sub_nc_u16 v31, v60, v31
	v_mul_lo_u16 v49, v97, 34
	v_mul_lo_u16 v79, v87, 34
	v_dual_sub_f32 v12, v7, v12 :: v_dual_and_b32 v19, 0xff, v19
	v_sub_nc_u16 v80, v68, v80
	v_mul_f32_e32 v37, v9, v37
	v_fma_f32 v8, v8, v34, -v23
	v_fma_f32 v9, v9, v36, -v45
	v_sub_f32_e32 v16, v3, v16
	v_sub_nc_u16 v46, v86, v46
	v_fmac_f32_e32 v26, v76, v34
	v_and_b32_e32 v86, 0xffff, v31
	v_lshlrev_b32_e32 v31, 2, v82
	v_sub_nc_u16 v49, v69, v49
	v_sub_nc_u16 v79, v62, v79
	v_dual_sub_f32 v8, v4, v8 :: v_dual_lshlrev_b32 v33, 3, v19
	v_dual_sub_f32 v9, v5, v9 :: v_dual_and_b32 v80, 0xffff, v80
	v_dual_fmac_f32 v37, v77, v36 :: v_dual_sub_f32 v36, v48, v22
	v_dual_sub_f32 v28, v53, v28 :: v_dual_lshlrev_b32 v81, 2, v85
	v_lshlrev_b32_e32 v82, 2, v91
	v_fma_f32 v3, v3, 2.0, -v16
	v_sub_f32_e32 v45, v51, v27
	v_add3_u32 v31, 0, v39, v31
	v_fma_f32 v1, v1, 2.0, -v14
	v_add3_u32 v39, 0, v41, v55
	v_fma_f32 v6, v6, 2.0, -v10
	v_fma_f32 v7, v7, 2.0, -v12
	v_and_b32_e32 v79, 0xffff, v79
	v_dual_sub_f32 v37, v75, v37 :: v_dual_and_b32 v46, 0xffff, v46
	v_add3_u32 v41, 0, v78, v81
	v_add3_u32 v38, 0, v38, v82
	v_fma_f32 v34, v47, 2.0, -v20
	v_sub_f32_e32 v47, v54, v11
	v_sub_f32_e32 v55, v74, v26
	v_fma_f32 v4, v4, 2.0, -v8
	v_fma_f32 v5, v5, 2.0, -v9
	ds_store_2addr_b32 v43, v2, v15 offset1:17
	ds_store_2addr_b32 v21, v3, v16 offset1:17
	ds_store_2addr_b32 v30, v0, v13 offset1:17
	ds_store_2addr_b32 v31, v1, v14 offset1:17
	ds_store_2addr_b32 v39, v6, v10 offset1:17
	ds_store_2addr_b32 v41, v7, v12 offset1:17
	ds_store_2addr_b32 v38, v4, v8 offset1:17
	ds_store_2addr_b32 v35, v5, v9 offset1:17
	s_waitcnt lgkmcnt(0)
	s_barrier
	buffer_gl0_inv
	ds_load_2addr_b32 v[6:7], v57 offset1:102
	ds_load_2addr_b32 v[26:27], v64 offset0:48 offset1:150
	ds_load_2addr_b32 v[8:9], v18 offset0:76 offset1:178
	;; [unrolled: 1-line block ×7, first 2 shown]
	v_and_b32_e32 v49, 0xffff, v49
	v_lshlrev_b32_e32 v32, 3, v84
	v_fma_f32 v48, v48, 2.0, -v36
	v_lshlrev_b32_e32 v50, 3, v86
	v_fma_f32 v51, v51, 2.0, -v45
	v_lshlrev_b32_e32 v85, 3, v80
	v_fma_f32 v52, v52, 2.0, -v29
	v_lshlrev_b32_e32 v90, 3, v89
	v_fma_f32 v53, v53, 2.0, -v28
	v_lshlrev_b32_e32 v91, 3, v49
	v_lshlrev_b32_e32 v92, 3, v79
	;; [unrolled: 1-line block ×3, first 2 shown]
	v_fma_f32 v54, v54, 2.0, -v47
	v_fma_f32 v74, v74, 2.0, -v55
	;; [unrolled: 1-line block ×3, first 2 shown]
	s_waitcnt lgkmcnt(0)
	s_barrier
	buffer_gl0_inv
	ds_store_2addr_b32 v43, v34, v20 offset1:17
	ds_store_2addr_b32 v21, v48, v36 offset1:17
	ds_store_2addr_b32 v30, v51, v45 offset1:17
	ds_store_2addr_b32 v31, v52, v29 offset1:17
	ds_store_2addr_b32 v39, v53, v28 offset1:17
	ds_store_2addr_b32 v41, v54, v47 offset1:17
	ds_store_2addr_b32 v38, v74, v55 offset1:17
	ds_store_2addr_b32 v35, v75, v37 offset1:17
	s_waitcnt lgkmcnt(0)
	s_barrier
	buffer_gl0_inv
	s_clause 0x7
	global_load_b64 v[38:39], v33, s[4:5] offset:136
	global_load_b64 v[30:31], v32, s[4:5] offset:136
	;; [unrolled: 1-line block ×8, first 2 shown]
	ds_load_2addr_b32 v[52:53], v64 offset0:48 offset1:150
	ds_load_2addr_b32 v[54:55], v42 offset0:124 offset1:226
	v_lshlrev_b32_e32 v42, 2, v46
	ds_load_2addr_b32 v[50:51], v44 offset0:72 offset1:174
	ds_load_2addr_b32 v[46:47], v66 offset0:148 offset1:250
	v_and_b32_e32 v14, 0xffff, v94
	v_and_b32_e32 v15, 0xffff, v17
	v_lshlrev_b32_e32 v19, 2, v19
	v_mul_u32_u24_e32 v16, 0x110, v93
	v_mul_u32_u24_e32 v17, 0x110, v95
	v_mul_u32_u24_e32 v14, 0x110, v14
	v_mul_u32_u24_e32 v15, 0x110, v15
	v_lshlrev_b32_e32 v74, 2, v80
	v_lshlrev_b32_e32 v83, 2, v79
	v_mul_u32_u24_e32 v41, 0x110, v96
	v_add3_u32 v77, 0, v14, v19
	v_lshlrev_b32_e32 v14, 2, v84
	v_lshlrev_b32_e32 v19, 2, v86
	v_add3_u32 v80, 0, v17, v74
	v_mul_u32_u24_e32 v45, 0x110, v87
	v_mul_u32_u24_e32 v43, 0x110, v97
	v_add3_u32 v78, 0, v15, v14
	v_add3_u32 v79, 0, v16, v19
	v_mul_u32_u24_e32 v48, 0x110, v88
	v_add_nc_u32_e32 v75, 0x1000, v57
	v_add3_u32 v83, 0, v45, v83
	s_delay_alu instid0(VALU_DEP_3)
	v_add3_u32 v84, 0, v48, v42
	s_waitcnt vmcnt(7) lgkmcnt(3)
	v_mul_f32_e32 v14, v52, v39
	s_waitcnt vmcnt(5) lgkmcnt(2)
	v_dual_mul_f32 v15, v53, v31 :: v_dual_mul_f32 v16, v54, v33
	s_waitcnt vmcnt(4)
	v_mul_f32_e32 v17, v55, v35
	s_waitcnt vmcnt(3) lgkmcnt(1)
	v_mul_f32_e32 v19, v50, v37
	s_waitcnt vmcnt(2)
	v_mul_f32_e32 v74, v51, v29
	s_waitcnt vmcnt(1) lgkmcnt(0)
	v_mul_f32_e32 v85, v46, v5
	s_waitcnt vmcnt(0)
	v_mul_f32_e32 v86, v47, v21
	v_fma_f32 v14, v26, v38, -v14
	v_fma_f32 v15, v27, v30, -v15
	;; [unrolled: 1-line block ×8, first 2 shown]
	v_dual_sub_f32 v14, v6, v14 :: v_dual_sub_f32 v15, v7, v15
	v_sub_f32_e32 v16, v8, v16
	s_delay_alu instid0(VALU_DEP_4)
	v_sub_f32_e32 v85, v12, v85
	v_sub_f32_e32 v17, v9, v17
	v_dual_sub_f32 v87, v11, v74 :: v_dual_add_nc_u32 v76, 0x600, v57
	v_lshlrev_b32_e32 v81, 2, v89
	v_dual_sub_f32 v19, v10, v19 :: v_dual_sub_f32 v74, v13, v86
	v_lshlrev_b32_e32 v49, 2, v49
	v_fma_f32 v6, v6, 2.0, -v14
	v_fma_f32 v7, v7, 2.0, -v15
	v_fma_f32 v8, v8, 2.0, -v16
	v_fma_f32 v9, v9, 2.0, -v17
	v_add3_u32 v81, 0, v41, v81
	v_fma_f32 v10, v10, 2.0, -v19
	v_fma_f32 v11, v11, 2.0, -v87
	;; [unrolled: 1-line block ×4, first 2 shown]
	v_add3_u32 v82, 0, v43, v49
	ds_load_2addr_b32 v[48:49], v57 offset1:102
	ds_load_2addr_b32 v[44:45], v18 offset0:76 offset1:178
	ds_load_2addr_b32 v[42:43], v40 offset0:152 offset1:254
	;; [unrolled: 1-line block ×3, first 2 shown]
	s_waitcnt lgkmcnt(0)
	s_barrier
	buffer_gl0_inv
	ds_store_2addr_b32 v77, v6, v14 offset1:34
	ds_store_2addr_b32 v78, v7, v15 offset1:34
	;; [unrolled: 1-line block ×8, first 2 shown]
	s_waitcnt lgkmcnt(0)
	s_barrier
	buffer_gl0_inv
	ds_load_2addr_b32 v[8:9], v57 offset1:102
	ds_load_2addr_b32 v[6:7], v76 offset0:24 offset1:160
	ds_load_2addr_b32 v[12:13], v75 offset0:64 offset1:166
	;; [unrolled: 1-line block ×6, first 2 shown]
	ds_load_b32 v64, v57 offset:5984
                                        ; implicit-def: $vgpr65
	s_and_saveexec_b32 s1, s0
	s_cbranch_execz .LBB0_17
; %bb.16:
	ds_load_b32 v74, v57 offset:2040
	ds_load_b32 v58, v57 offset:4216
	;; [unrolled: 1-line block ×3, first 2 shown]
.LBB0_17:
	s_or_b32 exec_lo, exec_lo, s1
	v_dual_mul_f32 v26, v26, v39 :: v_dual_mul_f32 v3, v3, v29
	v_dual_mul_f32 v27, v27, v31 :: v_dual_mul_f32 v22, v22, v33
	v_dual_mul_f32 v23, v23, v35 :: v_dual_mul_f32 v2, v2, v37
	s_delay_alu instid0(VALU_DEP_3) | instskip(NEXT) | instid1(VALU_DEP_3)
	v_dual_fmac_f32 v26, v52, v38 :: v_dual_fmac_f32 v3, v51, v28
	v_dual_fmac_f32 v27, v53, v30 :: v_dual_fmac_f32 v22, v54, v32
	v_mul_f32_e32 v0, v0, v5
	v_mul_f32_e32 v1, v1, v21
	v_dual_fmac_f32 v23, v55, v34 :: v_dual_fmac_f32 v2, v50, v36
	s_delay_alu instid0(VALU_DEP_4) | instskip(NEXT) | instid1(VALU_DEP_4)
	v_sub_f32_e32 v21, v49, v27
	v_dual_sub_f32 v5, v48, v26 :: v_dual_fmac_f32 v0, v46, v4
	s_delay_alu instid0(VALU_DEP_4) | instskip(NEXT) | instid1(VALU_DEP_4)
	v_dual_sub_f32 v22, v44, v22 :: v_dual_fmac_f32 v1, v47, v20
	v_dual_sub_f32 v2, v42, v2 :: v_dual_sub_f32 v23, v45, v23
	s_delay_alu instid0(VALU_DEP_3) | instskip(NEXT) | instid1(VALU_DEP_4)
	v_sub_f32_e32 v0, v40, v0
	v_fma_f32 v4, v48, 2.0, -v5
	s_delay_alu instid0(VALU_DEP_4) | instskip(SKIP_4) | instid1(VALU_DEP_4)
	v_fma_f32 v26, v44, 2.0, -v22
	v_dual_sub_f32 v3, v43, v3 :: v_dual_sub_f32 v44, v41, v1
	v_fma_f32 v20, v49, 2.0, -v21
	v_fma_f32 v1, v45, 2.0, -v23
	;; [unrolled: 1-line block ×6, first 2 shown]
	s_waitcnt lgkmcnt(0)
	s_barrier
	buffer_gl0_inv
	ds_store_2addr_b32 v77, v4, v5 offset1:34
	ds_store_2addr_b32 v78, v20, v21 offset1:34
	;; [unrolled: 1-line block ×8, first 2 shown]
	v_add_nc_u32_e32 v4, 0x800, v57
	v_add_nc_u32_e32 v5, 0x200, v57
	;; [unrolled: 1-line block ×4, first 2 shown]
	s_waitcnt lgkmcnt(0)
	s_barrier
	buffer_gl0_inv
	ds_load_2addr_b32 v[2:3], v57 offset1:102
	ds_load_2addr_b32 v[0:1], v76 offset0:24 offset1:160
	ds_load_2addr_b32 v[20:21], v75 offset0:64 offset1:166
	ds_load_2addr_b32 v[22:23], v4 offset0:134 offset1:236
	ds_load_2addr_b32 v[4:5], v5 offset0:76 offset1:178
	ds_load_2addr_b32 v[28:29], v26 offset0:12 offset1:114
	ds_load_2addr_b32 v[26:27], v27 offset0:82 offset1:184
	ds_load_b32 v30, v57 offset:5984
                                        ; implicit-def: $vgpr31
	s_and_saveexec_b32 s1, s0
	s_cbranch_execz .LBB0_19
; %bb.18:
	ds_load_b32 v44, v57 offset:2040
	ds_load_b32 v63, v57 offset:4216
	;; [unrolled: 1-line block ×3, first 2 shown]
.LBB0_19:
	s_or_b32 exec_lo, exec_lo, s1
	v_lshrrev_b32_e32 v35, 22, v72
	v_lshrrev_b32_e32 v34, 22, v73
	v_mul_lo_u16 v39, 0x79, v67
	v_lshrrev_b32_e32 v42, 22, v70
	v_lshrrev_b32_e32 v38, 22, v71
	v_mul_lo_u16 v40, 0x44, v35
	v_mul_lo_u16 v37, 0x44, v34
	v_lshrrev_b16 v39, 13, v39
	v_mul_lo_u16 v42, 0x44, v42
	v_dual_mov_b32 v33, 0 :: v_dual_add_nc_u32 v32, 0xffffffbc, v56
	v_sub_nc_u16 v40, v68, v40
	v_sub_nc_u16 v37, v60, v37
	v_mul_lo_u16 v43, 0x44, v39
	v_sub_nc_u16 v42, v69, v42
	v_cmp_gt_u32_e64 s1, 0x44, v56
	v_and_b32_e32 v40, 0xffff, v40
	v_and_b32_e32 v37, 0xffff, v37
	v_sub_nc_u16 v43, v59, v43
	v_and_b32_e32 v42, 0xffff, v42
	v_mul_lo_u16 v41, 0x44, v38
	v_lshlrev_b32_e32 v46, 4, v40
	v_cndmask_b32_e64 v36, v32, v56, s1
	v_mul_u32_u24_e32 v35, 0x330, v35
	v_mul_u32_u24_e32 v38, 0x330, v38
	v_sub_nc_u16 v41, v61, v41
	global_load_b128 v[70:73], v46, s[4:5] offset:408
	v_lshlrev_b32_e32 v45, 4, v37
	v_and_b32_e32 v46, 0xff, v43
	v_mul_u32_u24_e32 v34, 0x330, v34
	v_and_b32_e32 v41, 0xffff, v41
	global_load_b128 v[66:69], v45, s[4:5] offset:408
	v_lshlrev_b32_e32 v43, 4, v42
	global_load_b128 v[79:82], v43, s[4:5] offset:408
	v_lshlrev_b32_e32 v32, 1, v36
	v_lshlrev_b32_e32 v45, 4, v41
	;; [unrolled: 1-line block ×3, first 2 shown]
	s_delay_alu instid0(VALU_DEP_3) | instskip(SKIP_2) | instid1(VALU_DEP_1)
	v_lshlrev_b64 v[32:33], 3, v[32:33]
	global_load_b128 v[75:78], v45, s[4:5] offset:408
	v_add_co_u32 v32, s1, s4, v32
	v_add_co_ci_u32_e64 v33, s1, s5, v33, s1
	s_clause 0x1
	global_load_b128 v[83:86], v[32:33], off offset:408
	global_load_b128 v[87:90], v43, s[4:5] offset:408
	v_cmp_lt_u32_e64 s1, 0x43, v56
	v_lshlrev_b32_e32 v33, 2, v36
	v_and_b32_e32 v36, 0xffff, v39
	v_lshlrev_b32_e32 v39, 2, v46
	s_waitcnt vmcnt(0) lgkmcnt(0)
	v_cndmask_b32_e64 v32, 0, 0x330, s1
	s_barrier
	buffer_gl0_inv
	v_dual_mul_f32 v53, v26, v71 :: v_dual_mul_f32 v54, v29, v73
	v_add3_u32 v43, 0, v32, v33
	v_mul_u32_u24_e32 v32, 0x330, v36
	v_dual_mul_f32 v51, v19, v73 :: v_dual_lshlrev_b32 v36, 2, v40
	s_delay_alu instid0(VALU_DEP_4) | instskip(NEXT) | instid1(VALU_DEP_3)
	v_fma_f32 v19, v19, v72, -v54
	v_add3_u32 v50, 0, v32, v39
	v_dual_mul_f32 v32, v16, v71 :: v_dual_mul_f32 v71, v31, v82
	s_delay_alu instid0(VALU_DEP_4) | instskip(SKIP_1) | instid1(VALU_DEP_3)
	v_add3_u32 v46, 0, v35, v36
	v_dual_mul_f32 v36, v23, v67 :: v_dual_lshlrev_b32 v33, 2, v37
	v_dual_mul_f32 v35, v15, v67 :: v_dual_fmac_f32 v32, v26, v70
	v_dual_mul_f32 v52, v64, v78 :: v_dual_lshlrev_b32 v37, 2, v41
	v_mul_f32_e32 v55, v27, v76
	v_mul_f32_e32 v67, v30, v78
	v_fma_f32 v36, v15, v66, -v36
	s_delay_alu instid0(VALU_DEP_4)
	v_dual_mul_f32 v47, v65, v82 :: v_dual_fmac_f32 v52, v30, v77
	v_lshl_add_u32 v42, v42, 2, 0
	v_mul_f32_e32 v73, v1, v84
	v_mul_f32_e32 v40, v14, v88
	v_add3_u32 v45, 0, v38, v37
	v_dual_mul_f32 v38, v28, v69 :: v_dual_mul_f32 v41, v7, v84
	v_mul_f32_e32 v78, v22, v88
	s_delay_alu instid0(VALU_DEP_4)
	v_fmac_f32_e32 v40, v22, v87
	v_add3_u32 v48, 0, v34, v33
	v_dual_mul_f32 v34, v18, v69 :: v_dual_mul_f32 v33, v17, v76
	v_dual_mul_f32 v69, v63, v80 :: v_dual_mul_f32 v76, v20, v86
	v_fma_f32 v38, v18, v68, -v38
	v_dual_mul_f32 v49, v58, v80 :: v_dual_mul_f32 v80, v21, v90
	v_fma_f32 v18, v16, v70, -v53
	v_mul_f32_e32 v39, v12, v86
	v_fmac_f32_e32 v33, v27, v75
	v_fma_f32 v26, v7, v83, -v73
	v_fma_f32 v12, v12, v85, -v76
	v_fmac_f32_e32 v41, v1, v83
	v_fma_f32 v1, v14, v87, -v78
	v_fma_f32 v7, v13, v89, -v80
	v_dual_fmac_f32 v35, v23, v66 :: v_dual_sub_f32 v30, v33, v52
	v_fma_f32 v17, v17, v75, -v55
	v_mul_f32_e32 v37, v13, v90
	v_fma_f32 v15, v58, v79, -v69
	v_dual_add_f32 v22, v18, v19 :: v_dual_fmac_f32 v39, v20, v85
	v_dual_add_f32 v58, v1, v7 :: v_dual_fmac_f32 v47, v31, v81
	v_add_f32_e32 v31, v8, v26
	v_add_f32_e32 v53, v26, v12
	v_fmac_f32_e32 v34, v28, v68
	v_fmac_f32_e32 v51, v29, v72
	v_fma_f32 v23, v64, v77, -v67
	v_add_f32_e32 v28, v6, v17
	s_delay_alu instid0(VALU_DEP_4)
	v_dual_add_f32 v55, v9, v1 :: v_dual_sub_f32 v20, v35, v34
	v_fmac_f32_e32 v37, v21, v89
	v_add_f32_e32 v21, v11, v18
	v_dual_fmac_f32 v11, -0.5, v22 :: v_dual_add_f32 v22, v31, v12
	v_sub_f32_e32 v54, v41, v39
	v_fma_f32 v8, -0.5, v53, v8
	v_add_f32_e32 v14, v36, v38
	v_sub_f32_e32 v27, v32, v51
	v_add_f32_e32 v13, v10, v36
	v_fmac_f32_e32 v9, -0.5, v58
	v_fmamk_f32 v31, v54, 0x3f5db3d7, v8
	v_dual_fmac_f32 v8, 0xbf5db3d7, v54 :: v_dual_add_f32 v29, v17, v23
	v_fma_f32 v10, -0.5, v14, v10
	v_fmac_f32_e32 v49, v63, v79
	v_add_f32_e32 v14, v21, v19
	v_add_f32_e32 v21, v28, v23
	v_dual_add_f32 v28, v55, v7 :: v_dual_sub_f32 v63, v40, v37
	v_fma_f32 v16, v65, v81, -v71
	v_dual_fmac_f32 v6, -0.5, v29 :: v_dual_add_f32 v13, v13, v38
	v_fmamk_f32 v29, v20, 0x3f5db3d7, v10
	v_fmac_f32_e32 v10, 0xbf5db3d7, v20
	v_fmamk_f32 v53, v63, 0x3f5db3d7, v9
	v_fmac_f32_e32 v9, 0xbf5db3d7, v63
	;; [unrolled: 2-line block ×4, first 2 shown]
	ds_store_2addr_b32 v43, v22, v31 offset1:68
	ds_store_b32 v43, v8 offset:544
	ds_store_2addr_b32 v50, v28, v53 offset1:68
	ds_store_b32 v50, v9 offset:544
	;; [unrolled: 2-line block ×5, first 2 shown]
	s_and_saveexec_b32 s1, s0
	s_cbranch_execz .LBB0_21
; %bb.20:
	v_dual_add_f32 v6, v15, v16 :: v_dual_add_f32 v9, v74, v15
	v_sub_f32_e32 v8, v49, v47
	v_add_nc_u32_e32 v10, 0x1400, v42
	s_delay_alu instid0(VALU_DEP_3) | instskip(NEXT) | instid1(VALU_DEP_4)
	v_fma_f32 v6, -0.5, v6, v74
	v_add_f32_e32 v9, v9, v16
	s_delay_alu instid0(VALU_DEP_2)
	v_fmamk_f32 v11, v8, 0xbf5db3d7, v6
	v_fmac_f32_e32 v6, 0x3f5db3d7, v8
	ds_store_2addr_b32 v10, v9, v6 offset0:148 offset1:216
	ds_store_b32 v42, v11 offset:6256
.LBB0_21:
	s_or_b32 exec_lo, exec_lo, s1
	v_dual_add_f32 v6, v41, v39 :: v_dual_sub_f32 v9, v26, v12
	v_dual_add_f32 v8, v2, v41 :: v_dual_add_f32 v11, v35, v34
	v_dual_add_f32 v10, v40, v37 :: v_dual_sub_f32 v1, v1, v7
	s_delay_alu instid0(VALU_DEP_3) | instskip(SKIP_2) | instid1(VALU_DEP_3)
	v_fma_f32 v2, -0.5, v6, v2
	v_add_f32_e32 v6, v3, v40
	v_dual_add_f32 v13, v5, v32 :: v_dual_add_f32 v14, v0, v33
	v_dual_fmac_f32 v3, -0.5, v10 :: v_dual_fmamk_f32 v10, v9, 0xbf5db3d7, v2
	v_dual_add_f32 v7, v4, v35 :: v_dual_fmac_f32 v2, 0x3f5db3d7, v9
	v_sub_f32_e32 v9, v36, v38
	v_fma_f32 v4, -0.5, v11, v4
	s_delay_alu instid0(VALU_DEP_4)
	v_dual_add_f32 v8, v8, v39 :: v_dual_fmamk_f32 v11, v1, 0xbf5db3d7, v3
	v_add_f32_e32 v6, v6, v37
	v_fmac_f32_e32 v3, 0x3f5db3d7, v1
	v_add_f32_e32 v1, v7, v34
	v_dual_add_f32 v7, v32, v51 :: v_dual_fmamk_f32 v12, v9, 0xbf5db3d7, v4
	v_dual_fmac_f32 v4, 0x3f5db3d7, v9 :: v_dual_add_f32 v9, v33, v52
	s_waitcnt lgkmcnt(0)
	s_delay_alu instid0(VALU_DEP_2) | instskip(SKIP_1) | instid1(VALU_DEP_3)
	v_fmac_f32_e32 v5, -0.5, v7
	v_dual_sub_f32 v7, v18, v19 :: v_dual_add_nc_u32 v18, 0x400, v57
	v_dual_fmac_f32 v0, -0.5, v9 :: v_dual_sub_f32 v9, v17, v23
	v_add_nc_u32_e32 v17, 0x200, v57
	s_barrier
	buffer_gl0_inv
	ds_load_2addr_b32 v[26:27], v57 offset1:102
	ds_load_2addr_b32 v[28:29], v17 offset0:76 offset1:178
	ds_load_2addr_b32 v[30:31], v18 offset0:152 offset1:254
	v_add_nc_u32_e32 v18, 0xc00, v57
	v_add_nc_u32_e32 v17, 0x800, v57
	;; [unrolled: 1-line block ×3, first 2 shown]
	v_dual_add_f32 v13, v13, v51 :: v_dual_add_nc_u32 v20, 0x1200, v57
	v_add_nc_u32_e32 v21, 0x1400, v57
	ds_load_2addr_b32 v[40:41], v17 offset0:100 offset1:202
	ds_load_2addr_b32 v[38:39], v18 offset0:48 offset1:150
	;; [unrolled: 1-line block ×5, first 2 shown]
	v_fmamk_f32 v17, v7, 0xbf5db3d7, v5
	v_fmac_f32_e32 v5, 0x3f5db3d7, v7
	v_dual_add_f32 v7, v14, v52 :: v_dual_fmamk_f32 v14, v9, 0xbf5db3d7, v0
	v_fmac_f32_e32 v0, 0x3f5db3d7, v9
	s_waitcnt lgkmcnt(0)
	s_barrier
	buffer_gl0_inv
	ds_store_2addr_b32 v43, v8, v10 offset1:68
	ds_store_b32 v43, v2 offset:544
	ds_store_2addr_b32 v50, v6, v11 offset1:68
	ds_store_b32 v50, v3 offset:544
	;; [unrolled: 2-line block ×5, first 2 shown]
	s_and_saveexec_b32 s1, s0
	s_cbranch_execz .LBB0_23
; %bb.22:
	v_dual_add_f32 v0, v49, v47 :: v_dual_add_f32 v1, v44, v49
	v_sub_f32_e32 v2, v15, v16
	s_delay_alu instid0(VALU_DEP_2) | instskip(SKIP_1) | instid1(VALU_DEP_2)
	v_dual_fmac_f32 v44, -0.5, v0 :: v_dual_add_f32 v1, v1, v47
	v_add_nc_u32_e32 v0, 0x1400, v42
	v_fmamk_f32 v3, v2, 0xbf5db3d7, v44
	v_fmamk_f32 v2, v2, 0x3f5db3d7, v44
	ds_store_2addr_b32 v0, v1, v3 offset0:148 offset1:216
	ds_store_b32 v42, v2 offset:6256
.LBB0_23:
	s_or_b32 exec_lo, exec_lo, s1
	s_waitcnt lgkmcnt(0)
	s_barrier
	buffer_gl0_inv
	s_and_saveexec_b32 s0, vcc_lo
	s_cbranch_execz .LBB0_25
; %bb.24:
	v_add_nc_u32_e32 v87, 0x330, v56
	v_add_nc_u32_e32 v89, 0x4c8, v56
	v_mul_u32_u24_e32 v0, 7, v59
	v_mul_u32_u24_e32 v1, 7, v56
	v_mad_u64_u32 v[46:47], null, s8, v56, 0
	v_mad_u64_u32 v[48:49], null, s8, v60, 0
	v_mul_hi_u32 v83, 0xa0a0a0a1, v59
	v_mad_u64_u32 v[73:74], null, s8, v87, 0
	v_mad_u64_u32 v[77:78], null, s8, v89, 0
	v_lshlrev_b32_e32 v0, 3, v0
	v_lshlrev_b32_e32 v1, 3, v1
	v_add_nc_u32_e32 v88, 0x3fc, v56
	v_add_nc_u32_e32 v90, 0x594, v56
	v_lshrrev_b32_e32 v91, 7, v83
	v_mad_u64_u32 v[83:84], null, s9, v56, v[47:48]
	v_mov_b32_e32 v47, v74
	v_mov_b32_e32 v56, v78
	s_clause 0x7
	global_load_b128 v[20:23], v0, s[4:5] offset:1512
	global_load_b128 v[16:19], v1, s[4:5] offset:1512
	;; [unrolled: 1-line block ×4, first 2 shown]
	global_load_b64 v[44:45], v0, s[4:5] offset:1544
	global_load_b64 v[42:43], v1, s[4:5] offset:1544
	global_load_b128 v[4:7], v1, s[4:5] offset:1496
	global_load_b128 v[0:3], v1, s[4:5] offset:1528
	v_mad_u64_u32 v[79:80], null, s8, v90, 0
	v_add_nc_u32_e32 v54, 0xc00, v57
	v_add_nc_u32_e32 v55, 0x800, v57
	v_mad_u64_u32 v[75:76], null, s8, v88, 0
	v_add_nc_u32_e32 v50, 0x400, v57
	v_add_nc_u32_e32 v51, 0x1200, v57
	;; [unrolled: 1-line block ×5, first 2 shown]
	v_mad_u32_u24 v101, 0x594, v91, v59
	v_mov_b32_e32 v59, v80
	ds_load_2addr_b32 v[57:58], v57 offset1:102
	ds_load_2addr_b32 v[67:68], v54 offset0:48 offset1:150
	ds_load_2addr_b32 v[54:55], v55 offset0:100 offset1:202
	;; [unrolled: 1-line block ×6, first 2 shown]
	v_mad_u64_u32 v[63:64], null, s8, v61, 0
	v_mad_u64_u32 v[65:66], null, s8, v62, 0
	v_add_nc_u32_e32 v104, 0x264, v101
	v_add_nc_u32_e32 v106, 0x3fc, v101
	v_add_co_u32 v24, vcc_lo, s10, v24
	v_add_co_ci_u32_e32 v25, vcc_lo, s11, v25, vcc_lo
	s_delay_alu instid0(VALU_DEP_4)
	v_mad_u64_u32 v[91:92], null, s8, v104, 0
	v_add_nc_u32_e32 v105, 0x330, v101
	v_mad_u64_u32 v[95:96], null, s8, v106, 0
	v_add_nc_u32_e32 v102, 0xcc, v101
	v_add_nc_u32_e32 v108, 0x594, v101
	s_waitcnt lgkmcnt(2)
	v_mad_u64_u32 v[84:85], null, s9, v60, v[49:50]
	v_mad_u64_u32 v[85:86], null, s9, v61, v[64:65]
	;; [unrolled: 1-line block ×3, first 2 shown]
	v_mov_b32_e32 v49, v76
	v_mad_u64_u32 v[61:62], null, s9, v87, v[47:48]
	s_delay_alu instid0(VALU_DEP_4) | instskip(NEXT) | instid1(VALU_DEP_3)
	v_dual_mov_b32 v47, v83 :: v_dual_mov_b32 v64, v85
	v_mad_u64_u32 v[86:87], null, s9, v88, v[49:50]
	v_mad_u64_u32 v[87:88], null, s9, v89, v[56:57]
	;; [unrolled: 1-line block ×4, first 2 shown]
	v_add_nc_u32_e32 v103, 0x198, v101
	v_mov_b32_e32 v49, v84
	v_mov_b32_e32 v66, v60
	;; [unrolled: 1-line block ×4, first 2 shown]
	ds_load_2addr_b32 v[81:82], v81 offset0:148 offset1:250
	v_mov_b32_e32 v56, v90
	v_mad_u64_u32 v[83:84], null, s8, v103, 0
	v_mov_b32_e32 v76, v86
	v_mov_b32_e32 v78, v87
	v_lshlrev_b64 v[46:47], 3, v[46:47]
	v_lshlrev_b64 v[48:49], 3, v[48:49]
	;; [unrolled: 1-line block ×8, first 2 shown]
	v_mov_b32_e32 v80, v92
	v_mad_u64_u32 v[93:94], null, s8, v105, 0
	v_add_co_u32 v46, vcc_lo, v24, v46
	v_mov_b32_e32 v79, v84
	v_mad_u64_u32 v[84:85], null, s9, v101, v[56:57]
	v_add_co_ci_u32_e32 v47, vcc_lo, v25, v47, vcc_lo
	v_mad_u64_u32 v[99:100], null, s8, v108, 0
	v_mov_b32_e32 v85, v96
	v_mad_u64_u32 v[59:60], null, s8, v102, 0
	v_add_co_u32 v48, vcc_lo, v24, v48
	v_dual_mov_b32 v56, v94 :: v_dual_add_nc_u32 v107, 0x4c8, v101
	v_add_co_ci_u32_e32 v49, vcc_lo, v25, v49, vcc_lo
	v_add_co_u32 v61, vcc_lo, v24, v61
	s_delay_alu instid0(VALU_DEP_3) | instskip(SKIP_1) | instid1(VALU_DEP_3)
	v_mad_u64_u32 v[97:98], null, s8, v107, 0
	v_mov_b32_e32 v90, v84
	v_mad_u64_u32 v[87:88], null, s9, v102, v[60:61]
	v_mov_b32_e32 v60, v100
	v_mad_u64_u32 v[100:101], null, s9, v103, v[79:80]
	s_waitcnt lgkmcnt(0)
	v_mad_u64_u32 v[101:102], null, s9, v104, v[80:81]
	v_mad_u64_u32 v[79:80], null, s9, v105, v[56:57]
	v_mov_b32_e32 v86, v98
	v_add_co_ci_u32_e32 v62, vcc_lo, v25, v62, vcc_lo
	v_mov_b32_e32 v84, v100
	v_mov_b32_e32 v92, v101
	v_add_co_u32 v63, vcc_lo, v24, v63
	v_mov_b32_e32 v94, v79
	v_lshlrev_b64 v[79:80], 3, v[89:90]
	v_add_co_ci_u32_e32 v64, vcc_lo, v25, v64, vcc_lo
	v_add_co_u32 v65, vcc_lo, v24, v65
	v_add_co_ci_u32_e32 v66, vcc_lo, v25, v66, vcc_lo
	v_add_co_u32 v73, vcc_lo, v24, v73
	;; [unrolled: 2-line block ×5, first 2 shown]
	v_add_co_ci_u32_e32 v80, vcc_lo, v25, v80, vcc_lo
	s_waitcnt vmcnt(7)
	v_mul_f32_e32 v90, v41, v21
	v_mul_f32_e32 v21, v55, v21
	v_mad_u64_u32 v[102:103], null, s9, v106, v[85:86]
	v_mad_u64_u32 v[103:104], null, s9, v107, v[86:87]
	v_mad_u64_u32 v[85:86], null, s9, v108, v[60:61]
	v_mov_b32_e32 v60, v87
	v_mul_f32_e32 v56, v39, v23
	s_waitcnt vmcnt(4)
	v_dual_mul_f32 v23, v68, v23 :: v_dual_mul_f32 v100, v53, v9
	v_mul_f32_e32 v9, v33, v9
	v_lshlrev_b64 v[88:89], 3, v[93:94]
	v_mul_f32_e32 v94, v51, v11
	v_mul_f32_e32 v11, v35, v11
	v_lshlrev_b64 v[86:87], 3, v[91:92]
	v_dual_mul_f32 v91, v38, v19 :: v_dual_mul_f32 v92, v40, v17
	s_waitcnt vmcnt(3)
	v_dual_mov_b32 v96, v102 :: v_dual_mul_f32 v101, v37, v45
	v_mul_f32_e32 v17, v54, v17
	v_mul_f32_e32 v19, v67, v19
	v_dual_mul_f32 v93, v70, v15 :: v_dual_mul_f32 v98, v72, v13
	v_mul_f32_e32 v13, v29, v13
	v_mul_f32_e32 v15, v31, v15
	v_dual_mul_f32 v45, v82, v45 :: v_dual_fmac_f32 v56, v68, v22
	v_fmac_f32_e32 v91, v67, v18
	v_fmac_f32_e32 v90, v55, v20
	v_fma_f32 v20, v41, v20, -v21
	v_fma_f32 v21, v39, v22, -v23
	s_waitcnt vmcnt(2)
	v_dual_mul_f32 v22, v36, v43 :: v_dual_fmac_f32 v15, v14, v70
	v_mul_f32_e32 v23, v81, v43
	s_waitcnt vmcnt(1)
	v_mul_f32_e32 v39, v71, v5
	v_mul_f32_e32 v41, v69, v7
	;; [unrolled: 1-line block ×3, first 2 shown]
	s_waitcnt vmcnt(0)
	v_mul_f32_e32 v43, v50, v3
	v_fmac_f32_e32 v92, v54, v16
	v_dual_mul_f32 v7, v30, v7 :: v_dual_mul_f32 v54, v52, v1
	v_mul_f32_e32 v3, v34, v3
	v_mul_f32_e32 v1, v32, v1
	v_fma_f32 v16, v40, v16, -v17
	v_fma_f32 v17, v38, v18, -v19
	;; [unrolled: 1-line block ×4, first 2 shown]
	v_dual_fmac_f32 v13, v12, v72 :: v_dual_fmac_f32 v22, v81, v42
	v_fma_f32 v12, v35, v10, -v94
	v_fma_f32 v14, v33, v8, -v100
	v_fmac_f32_e32 v9, v8, v53
	v_fmac_f32_e32 v11, v10, v51
	;; [unrolled: 1-line block ×3, first 2 shown]
	v_fma_f32 v8, v37, v44, -v45
	v_fma_f32 v10, v36, v42, -v23
	;; [unrolled: 1-line block ×6, first 2 shown]
	v_fmac_f32_e32 v5, v4, v71
	v_fmac_f32_e32 v1, v0, v52
	v_dual_fmac_f32 v7, v6, v69 :: v_dual_sub_f32 v8, v20, v8
	v_fmac_f32_e32 v3, v2, v50
	v_sub_f32_e32 v0, v18, v12
	v_sub_f32_e32 v2, v58, v56
	;; [unrolled: 1-line block ×4, first 2 shown]
	v_dual_sub_f32 v9, v13, v9 :: v_dual_sub_f32 v22, v92, v22
	v_sub_f32_e32 v12, v27, v21
	v_dual_sub_f32 v6, v90, v101 :: v_dual_sub_f32 v11, v15, v11
	v_dual_sub_f32 v10, v16, v10 :: v_dual_sub_f32 v21, v57, v91
	;; [unrolled: 1-line block ×3, first 2 shown]
	s_delay_alu instid0(VALU_DEP_3) | instskip(NEXT) | instid1(VALU_DEP_4)
	v_dual_sub_f32 v17, v26, v17 :: v_dual_sub_f32 v34, v12, v11
	v_dual_sub_f32 v1, v7, v3 :: v_dual_sub_f32 v32, v4, v6
	v_add_f32_e32 v33, v9, v8
	v_fma_f32 v35, v58, 2.0, -v2
	v_fma_f32 v3, v15, 2.0, -v11
	;; [unrolled: 1-line block ×8, first 2 shown]
	v_dual_add_f32 v19, v14, v21 :: v_dual_sub_f32 v20, v29, v22
	v_dual_add_f32 v31, v0, v2 :: v_dual_sub_f32 v36, v17, v1
	;; [unrolled: 1-line block ×3, first 2 shown]
	v_fma_f32 v37, v57, 2.0, -v21
	v_fma_f32 v7, v7, 2.0, -v1
	;; [unrolled: 1-line block ×8, first 2 shown]
	v_dual_fmamk_f32 v0, v32, 0x3f3504f3, v34 :: v_dual_fmamk_f32 v1, v33, 0x3f3504f3, v31
	v_sub_f32_e32 v18, v15, v18
	v_sub_f32_e32 v22, v35, v3
	v_dual_sub_f32 v28, v13, v6 :: v_dual_fmamk_f32 v3, v27, 0x3f3504f3, v19
	v_fma_f32 v38, v2, 2.0, -v31
	v_fma_f32 v39, v4, 2.0, -v32
	;; [unrolled: 1-line block ×4, first 2 shown]
	v_dual_fmamk_f32 v2, v20, 0x3f3504f3, v36 :: v_dual_fmac_f32 v1, 0x3f3504f3, v32
	v_dual_sub_f32 v42, v37, v7 :: v_dual_sub_f32 v43, v16, v14
	v_sub_f32_e32 v12, v23, v10
	v_dual_sub_f32 v14, v26, v5 :: v_dual_fmamk_f32 v7, v40, 0xbf3504f3, v38
	v_fma_f32 v44, v21, 2.0, -v19
	v_fma_f32 v30, v30, 2.0, -v27
	;; [unrolled: 1-line block ×4, first 2 shown]
	v_dual_add_f32 v5, v22, v8 :: v_dual_fmac_f32 v0, 0xbf3504f3, v33
	v_add_f32_e32 v9, v42, v12
	v_dual_sub_f32 v4, v18, v28 :: v_dual_fmac_f32 v7, 0x3f3504f3, v39
	v_fmamk_f32 v6, v39, 0xbf3504f3, v41
	v_fma_f32 v32, v35, 2.0, -v22
	v_fma_f32 v17, v13, 2.0, -v28
	;; [unrolled: 1-line block ×3, first 2 shown]
	v_fmamk_f32 v11, v30, 0xbf3504f3, v44
	v_fmac_f32_e32 v2, 0xbf3504f3, v27
	v_fma_f32 v28, v37, 2.0, -v42
	v_sub_f32_e32 v17, v32, v17
	v_fma_f32 v26, v26, 2.0, -v14
	v_fma_f32 v33, v16, 2.0, -v43
	;; [unrolled: 1-line block ×3, first 2 shown]
	v_fmamk_f32 v10, v29, 0xbf3504f3, v45
	v_lshlrev_b64 v[59:60], 3, v[59:60]
	v_sub_f32_e32 v23, v28, v26
	v_fma_f32 v35, v15, 2.0, -v18
	v_fma_f32 v15, v22, 2.0, -v5
	v_dual_fmac_f32 v11, 0x3f3504f3, v29 :: v_dual_sub_f32 v22, v33, v27
	v_lshlrev_b64 v[83:84], 3, v[83:84]
	v_fmac_f32_e32 v10, 0xbf3504f3, v30
	v_dual_fmac_f32 v3, 0x3f3504f3, v20 :: v_dual_sub_f32 v8, v43, v14
	v_add_co_u32 v59, vcc_lo, v24, v59
	v_fma_f32 v13, v31, 2.0, -v1
	v_fmac_f32_e32 v6, 0xbf3504f3, v40
	v_sub_f32_e32 v16, v35, v21
	v_fma_f32 v31, v28, 2.0, -v23
	v_fma_f32 v30, v33, 2.0, -v22
	v_add_co_ci_u32_e32 v60, vcc_lo, v25, v60, vcc_lo
	v_fma_f32 v29, v44, 2.0, -v11
	v_fma_f32 v28, v45, 2.0, -v10
	v_add_co_u32 v83, vcc_lo, v24, v83
	v_fma_f32 v21, v42, 2.0, -v9
	v_fma_f32 v20, v43, 2.0, -v8
	;; [unrolled: 1-line block ×5, first 2 shown]
	v_mov_b32_e32 v98, v103
	v_add_co_ci_u32_e32 v84, vcc_lo, v25, v84, vcc_lo
	v_add_co_u32 v86, vcc_lo, v24, v86
	v_fma_f32 v27, v38, 2.0, -v7
	v_fma_f32 v26, v41, 2.0, -v6
	;; [unrolled: 1-line block ×4, first 2 shown]
	s_clause 0xa
	global_store_b64 v[46:47], v[30:31], off
	global_store_b64 v[48:49], v[28:29], off
	;; [unrolled: 1-line block ×11, first 2 shown]
	v_lshlrev_b64 v[2:3], 3, v[95:96]
	v_mov_b32_e32 v100, v85
	v_add_co_ci_u32_e32 v87, vcc_lo, v25, v87, vcc_lo
	v_add_co_u32 v8, vcc_lo, v24, v88
	v_lshlrev_b64 v[10:11], 3, v[97:98]
	v_add_co_ci_u32_e32 v9, vcc_lo, v25, v89, vcc_lo
	v_add_co_u32 v2, vcc_lo, v24, v2
	v_lshlrev_b64 v[14:15], 3, v[99:100]
	v_add_co_ci_u32_e32 v3, vcc_lo, v25, v3, vcc_lo
	v_add_co_u32 v10, vcc_lo, v24, v10
	v_fma_f32 v12, v34, 2.0, -v0
	v_add_co_ci_u32_e32 v11, vcc_lo, v25, v11, vcc_lo
	v_add_co_u32 v14, vcc_lo, v24, v14
	v_add_co_ci_u32_e32 v15, vcc_lo, v25, v15, vcc_lo
	s_clause 0x4
	global_store_b64 v[86:87], v[12:13], off
	global_store_b64 v[8:9], v[16:17], off
	;; [unrolled: 1-line block ×5, first 2 shown]
.LBB0_25:
	s_nop 0
	s_sendmsg sendmsg(MSG_DEALLOC_VGPRS)
	s_endpgm
	.section	.rodata,"a",@progbits
	.p2align	6, 0x0
	.amdhsa_kernel fft_rtc_fwd_len1632_factors_17_2_2_3_8_wgs_102_tpt_102_halfLds_sp_ip_CI_sbrr_dirReg
		.amdhsa_group_segment_fixed_size 0
		.amdhsa_private_segment_fixed_size 0
		.amdhsa_kernarg_size 88
		.amdhsa_user_sgpr_count 15
		.amdhsa_user_sgpr_dispatch_ptr 0
		.amdhsa_user_sgpr_queue_ptr 0
		.amdhsa_user_sgpr_kernarg_segment_ptr 1
		.amdhsa_user_sgpr_dispatch_id 0
		.amdhsa_user_sgpr_private_segment_size 0
		.amdhsa_wavefront_size32 1
		.amdhsa_uses_dynamic_stack 0
		.amdhsa_enable_private_segment 0
		.amdhsa_system_sgpr_workgroup_id_x 1
		.amdhsa_system_sgpr_workgroup_id_y 0
		.amdhsa_system_sgpr_workgroup_id_z 0
		.amdhsa_system_sgpr_workgroup_info 0
		.amdhsa_system_vgpr_workitem_id 0
		.amdhsa_next_free_vgpr 109
		.amdhsa_next_free_sgpr 23
		.amdhsa_reserve_vcc 1
		.amdhsa_float_round_mode_32 0
		.amdhsa_float_round_mode_16_64 0
		.amdhsa_float_denorm_mode_32 3
		.amdhsa_float_denorm_mode_16_64 3
		.amdhsa_dx10_clamp 1
		.amdhsa_ieee_mode 1
		.amdhsa_fp16_overflow 0
		.amdhsa_workgroup_processor_mode 1
		.amdhsa_memory_ordered 1
		.amdhsa_forward_progress 0
		.amdhsa_shared_vgpr_count 0
		.amdhsa_exception_fp_ieee_invalid_op 0
		.amdhsa_exception_fp_denorm_src 0
		.amdhsa_exception_fp_ieee_div_zero 0
		.amdhsa_exception_fp_ieee_overflow 0
		.amdhsa_exception_fp_ieee_underflow 0
		.amdhsa_exception_fp_ieee_inexact 0
		.amdhsa_exception_int_div_zero 0
	.end_amdhsa_kernel
	.text
.Lfunc_end0:
	.size	fft_rtc_fwd_len1632_factors_17_2_2_3_8_wgs_102_tpt_102_halfLds_sp_ip_CI_sbrr_dirReg, .Lfunc_end0-fft_rtc_fwd_len1632_factors_17_2_2_3_8_wgs_102_tpt_102_halfLds_sp_ip_CI_sbrr_dirReg
                                        ; -- End function
	.section	.AMDGPU.csdata,"",@progbits
; Kernel info:
; codeLenInByte = 14864
; NumSgprs: 25
; NumVgprs: 109
; ScratchSize: 0
; MemoryBound: 0
; FloatMode: 240
; IeeeMode: 1
; LDSByteSize: 0 bytes/workgroup (compile time only)
; SGPRBlocks: 3
; VGPRBlocks: 13
; NumSGPRsForWavesPerEU: 25
; NumVGPRsForWavesPerEU: 109
; Occupancy: 12
; WaveLimiterHint : 1
; COMPUTE_PGM_RSRC2:SCRATCH_EN: 0
; COMPUTE_PGM_RSRC2:USER_SGPR: 15
; COMPUTE_PGM_RSRC2:TRAP_HANDLER: 0
; COMPUTE_PGM_RSRC2:TGID_X_EN: 1
; COMPUTE_PGM_RSRC2:TGID_Y_EN: 0
; COMPUTE_PGM_RSRC2:TGID_Z_EN: 0
; COMPUTE_PGM_RSRC2:TIDIG_COMP_CNT: 0
	.text
	.p2alignl 7, 3214868480
	.fill 96, 4, 3214868480
	.type	__hip_cuid_40d62b284cddcf3b,@object ; @__hip_cuid_40d62b284cddcf3b
	.section	.bss,"aw",@nobits
	.globl	__hip_cuid_40d62b284cddcf3b
__hip_cuid_40d62b284cddcf3b:
	.byte	0                               ; 0x0
	.size	__hip_cuid_40d62b284cddcf3b, 1

	.ident	"AMD clang version 19.0.0git (https://github.com/RadeonOpenCompute/llvm-project roc-6.4.0 25133 c7fe45cf4b819c5991fe208aaa96edf142730f1d)"
	.section	".note.GNU-stack","",@progbits
	.addrsig
	.addrsig_sym __hip_cuid_40d62b284cddcf3b
	.amdgpu_metadata
---
amdhsa.kernels:
  - .args:
      - .actual_access:  read_only
        .address_space:  global
        .offset:         0
        .size:           8
        .value_kind:     global_buffer
      - .offset:         8
        .size:           8
        .value_kind:     by_value
      - .actual_access:  read_only
        .address_space:  global
        .offset:         16
        .size:           8
        .value_kind:     global_buffer
      - .actual_access:  read_only
        .address_space:  global
        .offset:         24
        .size:           8
        .value_kind:     global_buffer
      - .offset:         32
        .size:           8
        .value_kind:     by_value
      - .actual_access:  read_only
        .address_space:  global
        .offset:         40
        .size:           8
        .value_kind:     global_buffer
      - .actual_access:  read_only
        .address_space:  global
        .offset:         48
        .size:           8
        .value_kind:     global_buffer
      - .offset:         56
        .size:           4
        .value_kind:     by_value
      - .actual_access:  read_only
        .address_space:  global
        .offset:         64
        .size:           8
        .value_kind:     global_buffer
      - .actual_access:  read_only
        .address_space:  global
        .offset:         72
        .size:           8
        .value_kind:     global_buffer
      - .address_space:  global
        .offset:         80
        .size:           8
        .value_kind:     global_buffer
    .group_segment_fixed_size: 0
    .kernarg_segment_align: 8
    .kernarg_segment_size: 88
    .language:       OpenCL C
    .language_version:
      - 2
      - 0
    .max_flat_workgroup_size: 102
    .name:           fft_rtc_fwd_len1632_factors_17_2_2_3_8_wgs_102_tpt_102_halfLds_sp_ip_CI_sbrr_dirReg
    .private_segment_fixed_size: 0
    .sgpr_count:     25
    .sgpr_spill_count: 0
    .symbol:         fft_rtc_fwd_len1632_factors_17_2_2_3_8_wgs_102_tpt_102_halfLds_sp_ip_CI_sbrr_dirReg.kd
    .uniform_work_group_size: 1
    .uses_dynamic_stack: false
    .vgpr_count:     109
    .vgpr_spill_count: 0
    .wavefront_size: 32
    .workgroup_processor_mode: 1
amdhsa.target:   amdgcn-amd-amdhsa--gfx1100
amdhsa.version:
  - 1
  - 2
...

	.end_amdgpu_metadata
